;; amdgpu-corpus repo=ROCm/rocFFT kind=compiled arch=gfx1030 opt=O3
	.text
	.amdgcn_target "amdgcn-amd-amdhsa--gfx1030"
	.amdhsa_code_object_version 6
	.protected	fft_rtc_back_len2401_factors_7_7_7_7_wgs_49_tpt_49_halfLds_sp_op_CI_CI_unitstride_sbrr_dirReg ; -- Begin function fft_rtc_back_len2401_factors_7_7_7_7_wgs_49_tpt_49_halfLds_sp_op_CI_CI_unitstride_sbrr_dirReg
	.globl	fft_rtc_back_len2401_factors_7_7_7_7_wgs_49_tpt_49_halfLds_sp_op_CI_CI_unitstride_sbrr_dirReg
	.p2align	8
	.type	fft_rtc_back_len2401_factors_7_7_7_7_wgs_49_tpt_49_halfLds_sp_op_CI_CI_unitstride_sbrr_dirReg,@function
fft_rtc_back_len2401_factors_7_7_7_7_wgs_49_tpt_49_halfLds_sp_op_CI_CI_unitstride_sbrr_dirReg: ; @fft_rtc_back_len2401_factors_7_7_7_7_wgs_49_tpt_49_halfLds_sp_op_CI_CI_unitstride_sbrr_dirReg
; %bb.0:
	s_clause 0x2
	s_load_dwordx4 s[12:15], s[4:5], 0x0
	s_load_dwordx4 s[8:11], s[4:5], 0x58
	;; [unrolled: 1-line block ×3, first 2 shown]
	v_mul_u32_u24_e32 v2, 0x53a, v0
	v_mov_b32_e32 v1, 0
	v_mov_b32_e32 v74, 0
	;; [unrolled: 1-line block ×3, first 2 shown]
	v_add_nc_u32_sdwa v6, s6, v2 dst_sel:DWORD dst_unused:UNUSED_PAD src0_sel:DWORD src1_sel:WORD_1
	v_mov_b32_e32 v7, v1
	s_waitcnt lgkmcnt(0)
	v_cmp_lt_u64_e64 s0, s[14:15], 2
	s_and_b32 vcc_lo, exec_lo, s0
	s_cbranch_vccnz .LBB0_8
; %bb.1:
	s_load_dwordx2 s[0:1], s[4:5], 0x10
	v_mov_b32_e32 v74, 0
	v_mov_b32_e32 v75, 0
	s_add_u32 s2, s18, 8
	s_addc_u32 s3, s19, 0
	v_mov_b32_e32 v60, v74
	s_add_u32 s6, s16, 8
	v_mov_b32_e32 v61, v75
	s_addc_u32 s7, s17, 0
	s_mov_b64 s[22:23], 1
	s_waitcnt lgkmcnt(0)
	s_add_u32 s20, s0, 8
	s_addc_u32 s21, s1, 0
.LBB0_2:                                ; =>This Inner Loop Header: Depth=1
	s_load_dwordx2 s[24:25], s[20:21], 0x0
                                        ; implicit-def: $vgpr4_vgpr5
	s_mov_b32 s0, exec_lo
	s_waitcnt lgkmcnt(0)
	v_or_b32_e32 v2, s25, v7
	v_cmpx_ne_u64_e32 0, v[1:2]
	s_xor_b32 s1, exec_lo, s0
	s_cbranch_execz .LBB0_4
; %bb.3:                                ;   in Loop: Header=BB0_2 Depth=1
	v_cvt_f32_u32_e32 v2, s24
	v_cvt_f32_u32_e32 v3, s25
	s_sub_u32 s0, 0, s24
	s_subb_u32 s26, 0, s25
	v_fmac_f32_e32 v2, 0x4f800000, v3
	v_rcp_f32_e32 v2, v2
	v_mul_f32_e32 v2, 0x5f7ffffc, v2
	v_mul_f32_e32 v3, 0x2f800000, v2
	v_trunc_f32_e32 v3, v3
	v_fmac_f32_e32 v2, 0xcf800000, v3
	v_cvt_u32_f32_e32 v3, v3
	v_cvt_u32_f32_e32 v2, v2
	v_mul_lo_u32 v4, s0, v3
	v_mul_hi_u32 v5, s0, v2
	v_mul_lo_u32 v8, s26, v2
	v_add_nc_u32_e32 v4, v5, v4
	v_mul_lo_u32 v5, s0, v2
	v_add_nc_u32_e32 v4, v4, v8
	v_mul_hi_u32 v8, v2, v5
	v_mul_lo_u32 v9, v2, v4
	v_mul_hi_u32 v10, v2, v4
	v_mul_hi_u32 v11, v3, v5
	v_mul_lo_u32 v5, v3, v5
	v_mul_hi_u32 v12, v3, v4
	v_mul_lo_u32 v4, v3, v4
	v_add_co_u32 v8, vcc_lo, v8, v9
	v_add_co_ci_u32_e32 v9, vcc_lo, 0, v10, vcc_lo
	v_add_co_u32 v5, vcc_lo, v8, v5
	v_add_co_ci_u32_e32 v5, vcc_lo, v9, v11, vcc_lo
	v_add_co_ci_u32_e32 v8, vcc_lo, 0, v12, vcc_lo
	v_add_co_u32 v4, vcc_lo, v5, v4
	v_add_co_ci_u32_e32 v5, vcc_lo, 0, v8, vcc_lo
	v_add_co_u32 v2, vcc_lo, v2, v4
	v_add_co_ci_u32_e32 v3, vcc_lo, v3, v5, vcc_lo
	v_mul_hi_u32 v4, s0, v2
	v_mul_lo_u32 v8, s26, v2
	v_mul_lo_u32 v5, s0, v3
	v_add_nc_u32_e32 v4, v4, v5
	v_mul_lo_u32 v5, s0, v2
	v_add_nc_u32_e32 v4, v4, v8
	v_mul_hi_u32 v8, v2, v5
	v_mul_lo_u32 v9, v2, v4
	v_mul_hi_u32 v10, v2, v4
	v_mul_hi_u32 v11, v3, v5
	v_mul_lo_u32 v5, v3, v5
	v_mul_hi_u32 v12, v3, v4
	v_mul_lo_u32 v4, v3, v4
	v_add_co_u32 v8, vcc_lo, v8, v9
	v_add_co_ci_u32_e32 v9, vcc_lo, 0, v10, vcc_lo
	v_add_co_u32 v5, vcc_lo, v8, v5
	v_add_co_ci_u32_e32 v5, vcc_lo, v9, v11, vcc_lo
	v_add_co_ci_u32_e32 v8, vcc_lo, 0, v12, vcc_lo
	v_add_co_u32 v4, vcc_lo, v5, v4
	v_add_co_ci_u32_e32 v5, vcc_lo, 0, v8, vcc_lo
	v_add_co_u32 v4, vcc_lo, v2, v4
	v_add_co_ci_u32_e32 v8, vcc_lo, v3, v5, vcc_lo
	v_mul_hi_u32 v10, v6, v4
	v_mad_u64_u32 v[4:5], null, v7, v4, 0
	v_mad_u64_u32 v[2:3], null, v6, v8, 0
	;; [unrolled: 1-line block ×3, first 2 shown]
	v_add_co_u32 v2, vcc_lo, v10, v2
	v_add_co_ci_u32_e32 v3, vcc_lo, 0, v3, vcc_lo
	v_add_co_u32 v2, vcc_lo, v2, v4
	v_add_co_ci_u32_e32 v2, vcc_lo, v3, v5, vcc_lo
	v_add_co_ci_u32_e32 v3, vcc_lo, 0, v9, vcc_lo
	v_add_co_u32 v4, vcc_lo, v2, v8
	v_add_co_ci_u32_e32 v5, vcc_lo, 0, v3, vcc_lo
	v_mul_lo_u32 v8, s25, v4
	v_mad_u64_u32 v[2:3], null, s24, v4, 0
	v_mul_lo_u32 v9, s24, v5
	v_sub_co_u32 v2, vcc_lo, v6, v2
	v_add3_u32 v3, v3, v9, v8
	v_sub_nc_u32_e32 v8, v7, v3
	v_subrev_co_ci_u32_e64 v8, s0, s25, v8, vcc_lo
	v_add_co_u32 v9, s0, v4, 2
	v_add_co_ci_u32_e64 v10, s0, 0, v5, s0
	v_sub_co_u32 v11, s0, v2, s24
	v_sub_co_ci_u32_e32 v3, vcc_lo, v7, v3, vcc_lo
	v_subrev_co_ci_u32_e64 v8, s0, 0, v8, s0
	v_cmp_le_u32_e32 vcc_lo, s24, v11
	v_cmp_eq_u32_e64 s0, s25, v3
	v_cndmask_b32_e64 v11, 0, -1, vcc_lo
	v_cmp_le_u32_e32 vcc_lo, s25, v8
	v_cndmask_b32_e64 v12, 0, -1, vcc_lo
	v_cmp_le_u32_e32 vcc_lo, s24, v2
	;; [unrolled: 2-line block ×3, first 2 shown]
	v_cndmask_b32_e64 v13, 0, -1, vcc_lo
	v_cmp_eq_u32_e32 vcc_lo, s25, v8
	v_cndmask_b32_e64 v2, v13, v2, s0
	v_cndmask_b32_e32 v8, v12, v11, vcc_lo
	v_add_co_u32 v11, vcc_lo, v4, 1
	v_add_co_ci_u32_e32 v12, vcc_lo, 0, v5, vcc_lo
	v_cmp_ne_u32_e32 vcc_lo, 0, v8
	v_cndmask_b32_e32 v3, v12, v10, vcc_lo
	v_cndmask_b32_e32 v8, v11, v9, vcc_lo
	v_cmp_ne_u32_e32 vcc_lo, 0, v2
	v_cndmask_b32_e32 v5, v5, v3, vcc_lo
	v_cndmask_b32_e32 v4, v4, v8, vcc_lo
.LBB0_4:                                ;   in Loop: Header=BB0_2 Depth=1
	s_andn2_saveexec_b32 s0, s1
	s_cbranch_execz .LBB0_6
; %bb.5:                                ;   in Loop: Header=BB0_2 Depth=1
	v_cvt_f32_u32_e32 v2, s24
	s_sub_i32 s1, 0, s24
	v_rcp_iflag_f32_e32 v2, v2
	v_mul_f32_e32 v2, 0x4f7ffffe, v2
	v_cvt_u32_f32_e32 v2, v2
	v_mul_lo_u32 v3, s1, v2
	v_mul_hi_u32 v3, v2, v3
	v_add_nc_u32_e32 v2, v2, v3
	v_mul_hi_u32 v2, v6, v2
	v_mul_lo_u32 v3, v2, s24
	v_add_nc_u32_e32 v4, 1, v2
	v_sub_nc_u32_e32 v3, v6, v3
	v_subrev_nc_u32_e32 v5, s24, v3
	v_cmp_le_u32_e32 vcc_lo, s24, v3
	v_cndmask_b32_e32 v3, v3, v5, vcc_lo
	v_cndmask_b32_e32 v2, v2, v4, vcc_lo
	v_mov_b32_e32 v5, v1
	v_cmp_le_u32_e32 vcc_lo, s24, v3
	v_add_nc_u32_e32 v4, 1, v2
	v_cndmask_b32_e32 v4, v2, v4, vcc_lo
.LBB0_6:                                ;   in Loop: Header=BB0_2 Depth=1
	s_or_b32 exec_lo, exec_lo, s0
	v_mul_lo_u32 v8, v5, s24
	v_mul_lo_u32 v9, v4, s25
	s_load_dwordx2 s[0:1], s[6:7], 0x0
	v_mad_u64_u32 v[2:3], null, v4, s24, 0
	s_load_dwordx2 s[24:25], s[2:3], 0x0
	s_add_u32 s22, s22, 1
	s_addc_u32 s23, s23, 0
	s_add_u32 s2, s2, 8
	s_addc_u32 s3, s3, 0
	s_add_u32 s6, s6, 8
	v_add3_u32 v3, v3, v9, v8
	v_sub_co_u32 v2, vcc_lo, v6, v2
	s_addc_u32 s7, s7, 0
	s_add_u32 s20, s20, 8
	v_sub_co_ci_u32_e32 v3, vcc_lo, v7, v3, vcc_lo
	s_addc_u32 s21, s21, 0
	s_waitcnt lgkmcnt(0)
	v_mul_lo_u32 v6, s0, v3
	v_mul_lo_u32 v7, s1, v2
	v_mad_u64_u32 v[74:75], null, s0, v2, v[74:75]
	v_mul_lo_u32 v3, s24, v3
	v_mul_lo_u32 v8, s25, v2
	v_mad_u64_u32 v[60:61], null, s24, v2, v[60:61]
	v_cmp_ge_u64_e64 s0, s[22:23], s[14:15]
	v_add3_u32 v75, v7, v75, v6
	v_add3_u32 v61, v8, v61, v3
	s_and_b32 vcc_lo, exec_lo, s0
	s_cbranch_vccnz .LBB0_9
; %bb.7:                                ;   in Loop: Header=BB0_2 Depth=1
	v_mov_b32_e32 v7, v5
	v_mov_b32_e32 v6, v4
	s_branch .LBB0_2
.LBB0_8:
	v_mov_b32_e32 v60, v74
	v_mov_b32_e32 v4, v6
	;; [unrolled: 1-line block ×4, first 2 shown]
.LBB0_9:
	s_load_dwordx2 s[0:1], s[4:5], 0x28
	v_mul_hi_u32 v3, 0x539782a, v0
	s_lshl_b64 s[4:5], s[14:15], 3
                                        ; implicit-def: $sgpr6_sgpr7
                                        ; implicit-def: $vgpr128
	s_add_u32 s2, s18, s4
	s_addc_u32 s3, s19, s5
	s_waitcnt lgkmcnt(0)
	v_cmp_gt_u64_e32 vcc_lo, s[0:1], v[4:5]
	v_cmp_le_u64_e64 s0, s[0:1], v[4:5]
	s_and_saveexec_b32 s1, s0
	s_xor_b32 s0, exec_lo, s1
; %bb.10:
	v_mul_u32_u24_e32 v1, 49, v3
	s_mov_b64 s[6:7], 0
                                        ; implicit-def: $vgpr3
                                        ; implicit-def: $vgpr74_vgpr75
	v_sub_nc_u32_e32 v128, v0, v1
                                        ; implicit-def: $vgpr0
; %bb.11:
	s_or_saveexec_b32 s1, s0
	v_mov_b32_e32 v103, s7
	v_mov_b32_e32 v109, s7
	;; [unrolled: 1-line block ×56, first 2 shown]
                                        ; implicit-def: $vgpr17
                                        ; implicit-def: $vgpr15
                                        ; implicit-def: $vgpr11
                                        ; implicit-def: $vgpr36
                                        ; implicit-def: $vgpr42
                                        ; implicit-def: $vgpr25
                                        ; implicit-def: $vgpr56
                                        ; implicit-def: $vgpr63
                                        ; implicit-def: $vgpr40
                                        ; implicit-def: $vgpr69
                                        ; implicit-def: $vgpr79
                                        ; implicit-def: $vgpr51
                                        ; implicit-def: $vgpr85
                                        ; implicit-def: $vgpr91
                                        ; implicit-def: $vgpr73
                                        ; implicit-def: $vgpr95
                                        ; implicit-def: $vgpr105
                                        ; implicit-def: $vgpr89
                                        ; implicit-def: $vgpr107
                                        ; implicit-def: $vgpr111
                                        ; implicit-def: $vgpr99
	s_xor_b32 exec_lo, exec_lo, s1
	s_cbranch_execz .LBB0_13
; %bb.12:
	s_add_u32 s4, s16, s4
	s_addc_u32 s5, s17, s5
	v_mul_u32_u24_e32 v3, 49, v3
	s_load_dwordx2 s[4:5], s[4:5], 0x0
	v_sub_nc_u32_e32 v128, v0, v3
	s_waitcnt lgkmcnt(0)
	v_mul_lo_u32 v6, s5, v4
	v_mul_lo_u32 v7, s4, v5
	v_mad_u64_u32 v[1:2], null, s4, v4, 0
	v_add3_u32 v2, v2, v7, v6
	v_lshlrev_b64 v[6:7], 3, v[74:75]
	v_lshlrev_b64 v[1:2], 3, v[1:2]
	v_add_co_u32 v0, s0, s8, v1
	v_add_co_ci_u32_e64 v1, s0, s9, v2, s0
	v_lshlrev_b32_e32 v2, 3, v128
	v_add_co_u32 v0, s0, v0, v6
	v_add_co_ci_u32_e64 v1, s0, v1, v7, s0
	v_add_co_u32 v8, s0, v0, v2
	v_add_co_ci_u32_e64 v9, s0, 0, v1, s0
	;; [unrolled: 2-line block ×9, first 2 shown]
	s_clause 0x22
	global_load_dwordx2 v[33:34], v[8:9], off
	global_load_dwordx2 v[76:77], v[8:9], off offset:392
	global_load_dwordx2 v[53:54], v[8:9], off offset:784
	;; [unrolled: 1-line block ×34, first 2 shown]
	v_add_co_u32 v74, s0, 0x3800, v8
	v_add_co_ci_u32_e64 v75, s0, 0, v9, s0
	v_add_co_u32 v112, s0, 0x4800, v8
	v_add_co_ci_u32_e64 v113, s0, 0, v9, s0
	s_clause 0xd
	global_load_dwordx2 v[100:101], v[10:11], off offset:736
	global_load_dwordx2 v[10:11], v[10:11], off offset:344
	;; [unrolled: 1-line block ×14, first 2 shown]
.LBB0_13:
	s_or_b32 exec_lo, exec_lo, s1
	s_waitcnt vmcnt(18)
	v_add_f32_e32 v26, v106, v102
	s_waitcnt vmcnt(10)
	v_add_f32_e32 v32, v110, v108
	v_sub_f32_e32 v3, v102, v106
	v_sub_f32_e32 v29, v103, v107
	v_add_f32_e32 v43, v98, v100
	v_sub_f32_e32 v52, v109, v111
	v_sub_f32_e32 v75, v101, v99
	v_add_f32_e32 v102, v26, v32
	v_add_f32_e32 v0, v107, v103
	v_sub_f32_e32 v103, v32, v26
	v_sub_f32_e32 v106, v26, v43
	;; [unrolled: 1-line block ×3, first 2 shown]
	v_add_f32_e32 v26, v52, v75
	v_add_f32_e32 v43, v102, v43
	v_sub_f32_e32 v102, v75, v52
	v_sub_f32_e32 v52, v52, v29
	;; [unrolled: 1-line block ×3, first 2 shown]
	v_add_f32_e32 v29, v29, v26
	v_add_f32_e32 v26, v43, v33
	v_mul_f32_e32 v32, 0x3d64c772, v32
	v_mul_f32_e32 v33, 0x3f4a47b2, v106
	;; [unrolled: 1-line block ×4, first 2 shown]
	v_fmamk_f32 v43, v43, 0xbf955555, v26
	v_fmamk_f32 v106, v106, 0x3f4a47b2, v32
	v_fma_f32 v32, 0x3f3bfb3b, v103, -v32
	v_fma_f32 v33, 0xbf3bfb3b, v103, -v33
	v_fmamk_f32 v103, v75, 0xbeae86e6, v102
	v_fma_f32 v52, 0xbf5ff5aa, v52, -v102
	v_fma_f32 v102, 0x3eae86e6, v75, -v107
	v_add_f32_e32 v106, v106, v43
	v_add_f32_e32 v32, v32, v43
	;; [unrolled: 1-line block ×3, first 2 shown]
	v_fmac_f32_e32 v52, 0xbee1c552, v29
	v_fmac_f32_e32 v102, 0xbee1c552, v29
	;; [unrolled: 1-line block ×3, first 2 shown]
	v_add_f32_e32 v99, v99, v101
	v_sub_f32_e32 v75, v100, v98
	v_sub_f32_e32 v101, v32, v52
	v_add_f32_e32 v100, v43, v102
	v_add_f32_e32 v33, v32, v52
	v_sub_f32_e32 v52, v43, v102
	v_add_f32_e32 v98, v94, v92
	v_add_f32_e32 v29, v95, v93
	v_sub_f32_e32 v43, v92, v94
	v_sub_f32_e32 v94, v93, v95
	v_add_f32_e32 v95, v104, v96
	v_add_f32_e32 v92, v105, v97
	v_sub_f32_e32 v93, v96, v104
	v_sub_f32_e32 v96, v97, v105
	v_add_f32_e32 v97, v88, v82
	v_sub_f32_e32 v74, v108, v110
	v_add_f32_e32 v108, v106, v103
	;; [unrolled: 2-line block ×4, first 2 shown]
	v_sub_f32_e32 v103, v95, v98
	v_sub_f32_e32 v98, v98, v97
	;; [unrolled: 1-line block ×3, first 2 shown]
	v_add_f32_e32 v104, v96, v83
	v_sub_f32_e32 v105, v83, v96
	v_add_f32_e32 v89, v89, v97
	v_sub_f32_e32 v96, v96, v94
	v_mul_f32_e32 v95, 0x3d64c772, v95
	v_mul_f32_e32 v97, 0x3f4a47b2, v98
	v_add_f32_e32 v102, v29, v92
	v_sub_f32_e32 v83, v94, v83
	v_add_f32_e32 v76, v89, v76
	v_mul_f32_e32 v105, 0x3f08b237, v105
	v_fmamk_f32 v98, v98, 0x3f4a47b2, v95
	v_fma_f32 v95, 0x3f3bfb3b, v103, -v95
	v_fma_f32 v97, 0xbf3bfb3b, v103, -v97
	v_mul_f32_e32 v103, 0xbf5ff5aa, v96
	v_add_f32_e32 v94, v94, v104
	v_fmamk_f32 v89, v89, 0xbf955555, v76
	v_add_f32_e32 v104, v102, v120
	v_fmamk_f32 v102, v83, 0xbeae86e6, v105
	v_fma_f32 v83, 0x3eae86e6, v83, -v103
	v_fma_f32 v96, 0xbf5ff5aa, v96, -v105
	v_add_f32_e32 v98, v98, v89
	v_add_f32_e32 v95, v95, v89
	v_add_f32_e32 v89, v97, v89
	v_fmac_f32_e32 v83, 0xbee1c552, v94
	v_sub_f32_e32 v119, v82, v88
	v_add_f32_e32 v82, v84, v80
	v_sub_f32_e32 v84, v80, v84
	v_sub_f32_e32 v80, v81, v85
	v_add_f32_e32 v105, v89, v83
	v_sub_f32_e32 v118, v89, v83
	v_add_f32_e32 v83, v85, v81
	s_waitcnt vmcnt(5)
	v_add_f32_e32 v81, v90, v86
	v_add_f32_e32 v85, v91, v87
	v_sub_f32_e32 v86, v86, v90
	v_add_f32_e32 v89, v72, v66
	v_sub_f32_e32 v87, v87, v91
	v_sub_f32_e32 v90, v67, v73
	v_add_f32_e32 v91, v82, v81
	v_fmac_f32_e32 v102, 0xbee1c552, v94
	v_fmac_f32_e32 v96, 0xbee1c552, v94
	v_sub_f32_e32 v94, v81, v82
	v_sub_f32_e32 v82, v82, v89
	;; [unrolled: 1-line block ×3, first 2 shown]
	v_add_f32_e32 v89, v91, v89
	v_sub_f32_e32 v91, v90, v87
	v_sub_f32_e32 v117, v95, v96
	v_add_f32_e32 v115, v95, v96
	v_add_f32_e32 v95, v87, v90
	v_sub_f32_e32 v87, v87, v80
	v_add_f32_e32 v53, v89, v53
	v_mul_f32_e32 v81, 0x3d64c772, v81
	v_mul_f32_e32 v91, 0x3f08b237, v91
	v_sub_f32_e32 v90, v80, v90
	v_add_f32_e32 v80, v80, v95
	v_mul_f32_e32 v95, 0x3f4a47b2, v82
	v_mul_f32_e32 v96, 0xbf5ff5aa, v87
	v_fmamk_f32 v89, v89, 0xbf955555, v53
	v_fmamk_f32 v82, v82, 0x3f4a47b2, v81
	v_fma_f32 v81, 0x3f3bfb3b, v94, -v81
	v_fma_f32 v87, 0xbf5ff5aa, v87, -v91
	;; [unrolled: 1-line block ×3, first 2 shown]
	v_fmamk_f32 v95, v90, 0xbeae86e6, v91
	v_fma_f32 v96, 0x3eae86e6, v90, -v96
	v_add_f32_e32 v81, v81, v89
	v_fmac_f32_e32 v87, 0xbee1c552, v80
	v_add_f32_e32 v82, v82, v89
	v_fmac_f32_e32 v95, 0xbee1c552, v80
	v_fmac_f32_e32 v96, 0xbee1c552, v80
	v_add_f32_e32 v91, v73, v67
	v_sub_f32_e32 v90, v66, v72
	v_sub_f32_e32 v72, v81, v87
	v_add_f32_e32 v73, v81, v87
	v_add_f32_e32 v87, v68, v64
	;; [unrolled: 1-line block ×3, first 2 shown]
	v_sub_f32_e32 v81, v64, v68
	v_sub_f32_e32 v64, v65, v69
	s_waitcnt vmcnt(4)
	v_add_f32_e32 v65, v78, v70
	v_add_f32_e32 v89, v94, v89
	;; [unrolled: 1-line block ×3, first 2 shown]
	v_sub_f32_e32 v122, v82, v95
	v_add_f32_e32 v82, v79, v71
	v_sub_f32_e32 v78, v70, v78
	v_add_f32_e32 v68, v50, v48
	v_sub_f32_e32 v69, v71, v79
	v_sub_f32_e32 v70, v49, v51
	v_add_f32_e32 v71, v87, v65
	v_add_f32_e32 v67, v89, v96
	v_sub_f32_e32 v121, v89, v96
	v_sub_f32_e32 v79, v65, v87
	;; [unrolled: 1-line block ×4, first 2 shown]
	v_add_f32_e32 v89, v69, v70
	v_sub_f32_e32 v94, v70, v69
	v_add_f32_e32 v68, v71, v68
	v_sub_f32_e32 v70, v64, v70
	v_sub_f32_e32 v69, v69, v64
	v_mul_f32_e32 v65, 0x3d64c772, v65
	v_add_f32_e32 v64, v64, v89
	v_mul_f32_e32 v71, 0x3f4a47b2, v87
	v_add_f32_e32 v44, v68, v44
	v_mul_f32_e32 v89, 0x3f08b237, v94
	v_fmamk_f32 v87, v87, 0x3f4a47b2, v65
	v_fma_f32 v65, 0x3f3bfb3b, v79, -v65
	v_mul_f32_e32 v94, 0xbf5ff5aa, v69
	v_fmamk_f32 v68, v68, 0xbf955555, v44
	v_fma_f32 v71, 0xbf3bfb3b, v79, -v71
	v_fma_f32 v69, 0xbf5ff5aa, v69, -v89
	v_fmamk_f32 v79, v70, 0xbeae86e6, v89
	v_fma_f32 v70, 0x3eae86e6, v70, -v94
	v_add_f32_e32 v87, v87, v68
	v_add_f32_e32 v65, v65, v68
	v_fmac_f32_e32 v69, 0xbee1c552, v64
	v_fmac_f32_e32 v79, 0xbee1c552, v64
	v_add_f32_e32 v88, v104, v77
	v_add_f32_e32 v77, v98, v102
	v_sub_f32_e32 v116, v98, v102
	v_fmac_f32_e32 v70, 0xbee1c552, v64
	v_add_f32_e32 v106, v51, v49
	v_sub_f32_e32 v102, v48, v50
	v_add_f32_e32 v48, v87, v79
	v_sub_f32_e32 v50, v65, v69
	v_add_f32_e32 v51, v65, v69
	v_sub_f32_e32 v69, v87, v79
	v_add_f32_e32 v64, v55, v46
	v_add_f32_e32 v87, v56, v47
	v_sub_f32_e32 v79, v46, v55
	v_sub_f32_e32 v46, v47, v56
	s_waitcnt vmcnt(3)
	v_add_f32_e32 v47, v62, v57
	v_add_f32_e32 v89, v63, v58
	v_sub_f32_e32 v62, v57, v62
	v_add_f32_e32 v55, v39, v22
	v_sub_f32_e32 v56, v58, v63
	v_sub_f32_e32 v57, v23, v40
	v_add_f32_e32 v58, v64, v47
	v_add_f32_e32 v68, v71, v68
	v_sub_f32_e32 v63, v47, v64
	v_sub_f32_e32 v64, v64, v55
	;; [unrolled: 1-line block ×3, first 2 shown]
	v_add_f32_e32 v65, v56, v57
	v_add_f32_e32 v55, v58, v55
	v_sub_f32_e32 v58, v57, v56
	v_sub_f32_e32 v56, v56, v46
	v_add_f32_e32 v49, v68, v70
	v_sub_f32_e32 v68, v68, v70
	v_sub_f32_e32 v57, v46, v57
	v_mul_f32_e32 v47, 0x3d64c772, v47
	v_add_f32_e32 v46, v46, v65
	v_mul_f32_e32 v65, 0x3f4a47b2, v64
	v_add_f32_e32 v30, v55, v30
	v_mul_f32_e32 v58, 0x3f08b237, v58
	v_mul_f32_e32 v70, 0xbf5ff5aa, v56
	v_fmamk_f32 v64, v64, 0x3f4a47b2, v47
	v_fma_f32 v47, 0x3f3bfb3b, v63, -v47
	v_fmamk_f32 v55, v55, 0xbf955555, v30
	v_fma_f32 v63, 0xbf3bfb3b, v63, -v65
	v_fma_f32 v56, 0xbf5ff5aa, v56, -v58
	v_fmamk_f32 v58, v57, 0xbeae86e6, v58
	v_fma_f32 v57, 0x3eae86e6, v57, -v70
	v_add_f32_e32 v64, v64, v55
	v_add_f32_e32 v47, v47, v55
	;; [unrolled: 1-line block ×3, first 2 shown]
	v_fmac_f32_e32 v58, 0xbee1c552, v46
	v_fmac_f32_e32 v57, 0xbee1c552, v46
	;; [unrolled: 1-line block ×3, first 2 shown]
	v_add_f32_e32 v107, v40, v23
	v_add_f32_e32 v95, v36, v19
	v_sub_f32_e32 v63, v18, v35
	v_add_f32_e32 v23, v55, v57
	v_sub_f32_e32 v46, v55, v57
	;; [unrolled: 2-line block ×3, first 2 shown]
	s_waitcnt vmcnt(2)
	v_add_f32_e32 v19, v41, v37
	v_sub_f32_e32 v35, v38, v42
	v_add_f32_e32 v36, v24, v20
	v_add_f32_e32 v98, v25, v21
	v_sub_f32_e32 v97, v20, v24
	v_sub_f32_e32 v20, v21, v25
	v_add_f32_e32 v21, v55, v19
	v_add_f32_e32 v59, v111, v109
	s_waitcnt vmcnt(0)
	v_add_f32_e32 v24, v16, v6
	v_add_f32_e32 v111, v17, v7
	v_sub_f32_e32 v109, v6, v16
	v_sub_f32_e32 v6, v7, v17
	v_add_f32_e32 v7, v14, v12
	v_add_f32_e32 v112, v15, v13
	v_sub_f32_e32 v110, v12, v14
	v_sub_f32_e32 v12, v13, v15
	;; [unrolled: 4-line block ×3, first 2 shown]
	v_sub_f32_e32 v9, v19, v55
	v_sub_f32_e32 v10, v55, v36
	;; [unrolled: 1-line block ×3, first 2 shown]
	v_add_f32_e32 v14, v35, v20
	v_sub_f32_e32 v15, v20, v35
	v_add_f32_e32 v17, v21, v36
	v_sub_f32_e32 v19, v35, v18
	v_sub_f32_e32 v16, v18, v20
	v_mul_f32_e32 v11, 0x3d64c772, v11
	v_mul_f32_e32 v20, 0x3f4a47b2, v10
	v_add_f32_e32 v14, v18, v14
	v_add_f32_e32 v18, v17, v27
	v_mul_f32_e32 v21, 0xbf5ff5aa, v19
	v_mul_f32_e32 v15, 0x3f08b237, v15
	v_fmamk_f32 v10, v10, 0x3f4a47b2, v11
	v_fma_f32 v11, 0x3f3bfb3b, v9, -v11
	v_fma_f32 v9, 0xbf3bfb3b, v9, -v20
	v_fmamk_f32 v17, v17, 0xbf955555, v18
	v_fma_f32 v20, 0x3eae86e6, v16, -v21
	v_fmamk_f32 v16, v16, 0xbeae86e6, v15
	v_fma_f32 v15, 0xbf5ff5aa, v19, -v15
	v_sub_f32_e32 v21, v24, v13
	v_add_f32_e32 v11, v11, v17
	v_add_f32_e32 v10, v10, v17
	v_fmac_f32_e32 v16, 0xbee1c552, v14
	v_fmac_f32_e32 v15, 0xbee1c552, v14
	v_add_f32_e32 v9, v9, v17
	v_fmac_f32_e32 v20, 0xbee1c552, v14
	v_sub_f32_e32 v103, v22, v39
	v_add_f32_e32 v22, v64, v58
	v_sub_f32_e32 v17, v11, v15
	v_add_f32_e32 v11, v11, v15
	v_add_f32_e32 v15, v10, v16
	v_sub_f32_e32 v10, v10, v16
	v_add_f32_e32 v16, v24, v7
	v_add_f32_e32 v14, v9, v20
	v_sub_f32_e32 v9, v9, v20
	v_sub_f32_e32 v20, v7, v24
	;; [unrolled: 1-line block ×3, first 2 shown]
	v_add_f32_e32 v13, v16, v13
	v_sub_f32_e32 v16, v8, v12
	v_sub_f32_e32 v39, v47, v56
	v_add_f32_e32 v40, v47, v56
	v_sub_f32_e32 v47, v64, v58
	v_mad_u32_u24 v64, v128, 28, 0
	v_add_f32_e32 v24, v12, v8
	v_sub_f32_e32 v8, v6, v8
	v_sub_f32_e32 v12, v12, v6
	v_mul_f32_e32 v7, 0x3d64c772, v7
	v_mul_f32_e32 v25, 0x3f4a47b2, v21
	;; [unrolled: 1-line block ×3, first 2 shown]
	v_sub_f32_e32 v19, v120, v92
	ds_write2_b32 v64, v26, v108 offset1:1
	v_mul_f32_e32 v26, 0xbf5ff5aa, v12
	v_fmamk_f32 v21, v21, 0x3f4a47b2, v7
	v_fma_f32 v7, 0x3f3bfb3b, v20, -v7
	v_fma_f32 v20, 0xbf3bfb3b, v20, -v25
	v_add_f32_e32 v25, v13, v1
	v_fma_f32 v1, 0xbf5ff5aa, v12, -v16
	v_fmamk_f32 v12, v8, 0xbeae86e6, v16
	v_sub_f32_e32 v16, v119, v93
	v_sub_f32_e32 v57, v29, v120
	v_add_f32_e32 v6, v6, v24
	v_add_f32_e32 v24, v93, v119
	ds_write2_b32 v64, v100, v101 offset0:2 offset1:3
	v_mul_f32_e32 v101, 0x3d64c772, v19
	v_sub_f32_e32 v93, v93, v43
	v_sub_f32_e32 v58, v43, v119
	v_mul_f32_e32 v108, 0x3f08b237, v16
	v_sub_f32_e32 v92, v92, v29
	v_fmamk_f32 v19, v57, 0x3f4a47b2, v101
	v_mul_f32_e32 v57, 0x3f4a47b2, v57
	v_mul_f32_e32 v137, 0xbf5ff5aa, v93
	v_fmamk_f32 v13, v13, 0xbf955555, v25
	v_add_f32_e32 v100, v43, v24
	v_fmamk_f32 v119, v104, 0xbf955555, v88
	v_fmamk_f32 v123, v58, 0xbeae86e6, v108
	v_add_nc_u32_e32 v125, 0x55c, v64
	v_add_nc_u32_e32 v127, 0x56c, v64
	v_fma_f32 v8, 0x3eae86e6, v8, -v26
	v_add_nc_u32_e32 v126, 0x564, v64
	v_fma_f32 v101, 0x3f3bfb3b, v92, -v101
	v_fma_f32 v92, 0xbf3bfb3b, v92, -v57
	;; [unrolled: 1-line block ×4, first 2 shown]
	v_add_f32_e32 v7, v7, v13
	v_fmac_f32_e32 v1, 0xbee1c552, v6
	s_load_dwordx2 s[0:1], s[2:3], 0x0
	v_add_f32_e32 v124, v19, v119
	ds_write2_b32 v64, v33, v52 offset0:4 offset1:5
	ds_write_b32 v64, v32 offset:24
	v_fmac_f32_e32 v123, 0xbee1c552, v100
	ds_write2_b32 v125, v76, v77 offset1:1
	ds_write2_b32 v126, v105, v117 offset1:1
	v_add_nc_u32_e32 v117, 0xab8, v64
	ds_write2_b32 v127, v115, v118 offset1:1
	v_add_nc_u32_e32 v115, 0xac0, v64
	ds_write_b32 v64, v116 offset:1396
	v_add_nc_u32_e32 v116, 0xac8, v64
	v_lshl_add_u32 v129, v128, 2, 0
	v_add_f32_e32 v16, v21, v13
	v_add_f32_e32 v13, v20, v13
	v_fmac_f32_e32 v8, 0xbee1c552, v6
	v_fmac_f32_e32 v12, 0xbee1c552, v6
	v_add_f32_e32 v101, v101, v119
	v_add_f32_e32 v92, v92, v119
	v_fmac_f32_e32 v137, 0xbee1c552, v100
	v_fmac_f32_e32 v93, 0xbee1c552, v100
	v_add_nc_u32_e32 v118, 0x1014, v64
	v_sub_f32_e32 v6, v7, v1
	v_add_f32_e32 v7, v7, v1
	v_add_nc_u32_e32 v1, 0x101c, v64
	v_add_nc_u32_e32 v65, 0x1024, v64
	ds_write2_b32 v117, v53, v66 offset1:1
	ds_write2_b32 v115, v67, v72 offset1:1
	;; [unrolled: 1-line block ×3, first 2 shown]
	ds_write_b32 v64, v122 offset:2768
	ds_write2_b32 v118, v44, v48 offset1:1
	v_add_nc_u32_e32 v71, 0x1570, v64
	v_add_nc_u32_e32 v130, 0x800, v129
	;; [unrolled: 1-line block ×4, first 2 shown]
	v_sub_f32_e32 v100, v124, v123
	v_add_f32_e32 v108, v83, v85
	v_add_f32_e32 v20, v13, v8
	v_sub_f32_e32 v8, v13, v8
	v_add_f32_e32 v13, v16, v12
	v_add_nc_u32_e32 v66, 0x1578, v64
	v_add_nc_u32_e32 v70, 0x202c, v64
	;; [unrolled: 1-line block ×6, first 2 shown]
	v_sub_f32_e32 v119, v92, v137
	v_add_f32_e32 v138, v93, v101
	v_add_nc_u32_e32 v67, 0x1580, v64
	v_add_nc_u32_e32 v77, 0x1ad0, v64
	;; [unrolled: 1-line block ×5, first 2 shown]
	v_sub_f32_e32 v12, v16, v12
	ds_write2_b32 v1, v49, v50 offset1:1
	ds_write2_b32 v65, v51, v68 offset1:1
	ds_write_b32 v64, v69 offset:4140
	ds_write2_b32 v71, v30, v22 offset1:1
	ds_write2_b32 v66, v23, v39 offset1:1
	ds_write2_b32 v67, v40, v46 offset1:1
	v_add_nc_u32_e32 v68, 0x1ad8, v64
	v_add_nc_u32_e32 v76, 0x203c, v64
	;; [unrolled: 1-line block ×4, first 2 shown]
	v_add_f32_e32 v96, v42, v38
	v_sub_f32_e32 v94, v37, v41
	ds_write_b32 v64, v47 offset:5512
	ds_write_b32 v64, v18 offset:6860
	ds_write2_b32 v77, v15, v14 offset1:1
	ds_write2_b32 v68, v17, v11 offset1:1
	ds_write2_b32 v72, v9, v10 offset1:1
	ds_write_b32 v64, v25 offset:8232
	ds_write2_b32 v70, v13, v20 offset1:1
	ds_write2_b32 v73, v6, v7 offset1:1
	;; [unrolled: 1-line block ×3, first 2 shown]
	s_waitcnt lgkmcnt(0)
	s_barrier
	buffer_gl0_inv
	ds_read2_b32 v[12:13], v129 offset1:49
	ds_read2_b32 v[6:7], v133 offset0:38 offset1:87
	ds_read2_b32 v[16:17], v130 offset0:174 offset1:223
	;; [unrolled: 1-line block ×6, first 2 shown]
	v_add_nc_u32_e32 v136, 0xc00, v129
	v_add_nc_u32_e32 v120, 0x600, v129
	ds_read_b32 v69, v129 offset:9408
	ds_read2_b32 v[18:19], v133 offset0:136 offset1:185
	ds_read2_b32 v[32:33], v135 offset0:54 offset1:103
	;; [unrolled: 1-line block ×17, first 2 shown]
	s_waitcnt lgkmcnt(0)
	s_barrier
	buffer_gl0_inv
	v_add_f32_e32 v108, v108, v91
	ds_write2_b32 v125, v88, v100 offset1:1
	ds_write2_b32 v126, v119, v138 offset1:1
	v_sub_f32_e32 v88, v91, v85
	v_sub_f32_e32 v93, v101, v93
	;; [unrolled: 1-line block ×3, first 2 shown]
	v_add_f32_e32 v100, v86, v90
	v_add_f32_e32 v54, v108, v54
	v_sub_f32_e32 v91, v83, v91
	v_mul_f32_e32 v88, 0x3d64c772, v88
	v_sub_f32_e32 v90, v84, v90
	v_mul_f32_e32 v101, 0x3f08b237, v101
	v_add_f32_e32 v100, v84, v100
	v_sub_f32_e32 v84, v86, v84
	v_fmamk_f32 v108, v108, 0xbf955555, v54
	v_fmamk_f32 v86, v91, 0x3f4a47b2, v88
	;; [unrolled: 1-line block ×3, first 2 shown]
	v_sub_f32_e32 v83, v85, v83
	v_mul_f32_e32 v85, 0x3f4a47b2, v91
	v_mul_f32_e32 v91, 0xbf5ff5aa, v84
	v_add_f32_e32 v86, v86, v108
	v_fmac_f32_e32 v119, 0xbee1c552, v100
	v_fma_f32 v88, 0x3f3bfb3b, v83, -v88
	v_fma_f32 v83, 0xbf3bfb3b, v83, -v85
	;; [unrolled: 1-line block ×4, first 2 shown]
	v_add_f32_e32 v90, v80, v82
	v_add_f32_e32 v91, v137, v92
	v_sub_f32_e32 v92, v86, v119
	v_add_f32_e32 v88, v88, v108
	v_add_f32_e32 v83, v83, v108
	v_fmac_f32_e32 v85, 0xbee1c552, v100
	v_fmac_f32_e32 v84, 0xbee1c552, v100
	v_add_f32_e32 v90, v90, v106
	ds_write2_b32 v127, v93, v91 offset1:1
	ds_write2_b32 v117, v54, v92 offset1:1
	v_sub_f32_e32 v54, v106, v82
	v_sub_f32_e32 v100, v83, v85
	v_add_f32_e32 v101, v84, v88
	v_add_f32_e32 v45, v90, v45
	v_sub_f32_e32 v92, v80, v106
	v_mul_f32_e32 v54, 0x3d64c772, v54
	v_sub_f32_e32 v91, v102, v78
	ds_write2_b32 v115, v100, v101 offset1:1
	v_add_f32_e32 v93, v78, v102
	v_sub_f32_e32 v100, v81, v102
	v_add_f32_e32 v101, v0, v59
	v_fmamk_f32 v90, v90, 0xbf955555, v45
	v_fmamk_f32 v102, v92, 0x3f4a47b2, v54
	v_sub_f32_e32 v84, v88, v84
	v_sub_f32_e32 v115, v75, v74
	v_add_f32_e32 v101, v101, v99
	v_add_f32_e32 v108, v74, v75
	v_add_f32_e32 v88, v102, v90
	v_sub_f32_e32 v102, v99, v59
	v_mul_f32_e32 v91, 0x3f08b237, v91
	v_add_f32_e32 v34, v101, v34
	v_sub_f32_e32 v99, v0, v99
	v_sub_f32_e32 v75, v3, v75
	v_mul_f32_e32 v102, 0x3d64c772, v102
	v_mul_f32_e32 v115, 0x3f08b237, v115
	v_add_f32_e32 v108, v3, v108
	v_sub_f32_e32 v3, v74, v3
	v_add_f32_e32 v93, v81, v93
	v_fmamk_f32 v106, v100, 0xbeae86e6, v91
	v_fmamk_f32 v101, v101, 0xbf955555, v34
	;; [unrolled: 1-line block ×4, first 2 shown]
	v_sub_f32_e32 v0, v59, v0
	v_mul_f32_e32 v59, 0x3f4a47b2, v99
	v_mul_f32_e32 v99, 0xbf5ff5aa, v3
	v_fmac_f32_e32 v106, 0xbee1c552, v93
	v_add_f32_e32 v74, v74, v101
	v_fmac_f32_e32 v117, 0xbee1c552, v108
	v_fma_f32 v102, 0x3f3bfb3b, v0, -v102
	v_fma_f32 v0, 0xbf3bfb3b, v0, -v59
	;; [unrolled: 1-line block ×3, first 2 shown]
	v_add_f32_e32 v83, v85, v83
	v_sub_f32_e32 v85, v88, v106
	v_sub_f32_e32 v99, v74, v117
	v_add_f32_e32 v0, v0, v101
	v_fmac_f32_e32 v59, 0xbee1c552, v108
	ds_write2_b32 v116, v84, v83 offset1:1
	ds_write2_b32 v118, v45, v85 offset1:1
	;; [unrolled: 1-line block ×3, first 2 shown]
	v_sub_f32_e32 v34, v78, v81
	v_sub_f32_e32 v45, v82, v80
	v_fma_f32 v3, 0xbf5ff5aa, v3, -v115
	v_add_f32_e32 v75, v102, v101
	v_sub_f32_e32 v101, v0, v59
	v_add_f32_e32 v80, v59, v0
	v_fma_f32 v0, 0x3f3bfb3b, v45, -v54
	v_fma_f32 v59, 0xbf5ff5aa, v34, -v91
	v_fmac_f32_e32 v3, 0xbee1c552, v108
	v_mul_f32_e32 v78, 0xbf5ff5aa, v34
	v_sub_f32_e32 v84, v107, v89
	v_add_f32_e32 v0, v0, v90
	v_fmac_f32_e32 v59, 0xbee1c552, v93
	v_add_f32_e32 v102, v3, v75
	v_sub_f32_e32 v3, v75, v3
	v_mul_f32_e32 v75, 0x3f4a47b2, v92
	v_sub_f32_e32 v82, v89, v87
	v_add_f32_e32 v54, v59, v0
	v_sub_f32_e32 v0, v0, v59
	v_add_f32_e32 v59, v87, v89
	v_fma_f32 v45, 0xbf3bfb3b, v45, -v75
	v_fma_f32 v75, 0x3eae86e6, v100, -v78
	v_add_f32_e32 v78, v119, v86
	v_sub_f32_e32 v86, v103, v62
	v_add_f32_e32 v59, v59, v107
	v_add_f32_e32 v45, v45, v90
	v_fmac_f32_e32 v75, 0xbee1c552, v93
	v_sub_f32_e32 v83, v87, v107
	v_add_f32_e32 v85, v62, v103
	v_sub_f32_e32 v62, v62, v79
	v_mul_f32_e32 v84, 0x3d64c772, v84
	v_add_f32_e32 v31, v59, v31
	v_mul_f32_e32 v86, 0x3f08b237, v86
	v_sub_f32_e32 v81, v45, v75
	v_add_f32_e32 v45, v75, v45
	v_add_f32_e32 v75, v106, v88
	v_sub_f32_e32 v87, v79, v103
	v_add_f32_e32 v79, v79, v85
	v_mul_f32_e32 v85, 0x3f4a47b2, v83
	v_fmamk_f32 v83, v83, 0x3f4a47b2, v84
	v_mul_f32_e32 v88, 0xbf5ff5aa, v62
	v_fma_f32 v84, 0x3f3bfb3b, v82, -v84
	v_fmamk_f32 v59, v59, 0xbf955555, v31
	v_fma_f32 v62, 0xbf5ff5aa, v62, -v86
	v_fma_f32 v82, 0xbf3bfb3b, v82, -v85
	;; [unrolled: 1-line block ×3, first 2 shown]
	v_fmamk_f32 v86, v87, 0xbeae86e6, v86
	v_add_f32_e32 v84, v84, v59
	v_fmac_f32_e32 v62, 0xbee1c552, v79
	v_add_f32_e32 v82, v82, v59
	v_fmac_f32_e32 v85, 0xbee1c552, v79
	;; [unrolled: 2-line block ×3, first 2 shown]
	v_add_f32_e32 v79, v62, v84
	v_sub_f32_e32 v83, v84, v62
	v_add_f32_e32 v62, v95, v96
	v_sub_f32_e32 v87, v95, v98
	v_sub_f32_e32 v88, v98, v96
	v_add_f32_e32 v89, v94, v97
	v_sub_f32_e32 v90, v97, v94
	v_add_f32_e32 v62, v62, v98
	v_sub_f32_e32 v92, v94, v63
	v_sub_f32_e32 v84, v82, v85
	;; [unrolled: 5-line block ×3, first 2 shown]
	v_mul_f32_e32 v88, 0x3d64c772, v88
	v_add_f32_e32 v63, v63, v89
	v_add_f32_e32 v89, v62, v28
	v_mul_f32_e32 v28, 0x3f4a47b2, v87
	v_mul_f32_e32 v90, 0x3f08b237, v90
	;; [unrolled: 1-line block ×3, first 2 shown]
	v_fmamk_f32 v87, v87, 0x3f4a47b2, v88
	v_fma_f32 v88, 0x3f3bfb3b, v59, -v88
	v_fmamk_f32 v62, v62, 0xbf955555, v89
	v_fma_f32 v92, 0xbf5ff5aa, v92, -v90
	v_fma_f32 v28, 0xbf3bfb3b, v59, -v28
	;; [unrolled: 1-line block ×3, first 2 shown]
	v_fmamk_f32 v90, v91, 0xbeae86e6, v90
	v_add_f32_e32 v88, v88, v62
	v_fmac_f32_e32 v92, 0xbee1c552, v63
	v_add_f32_e32 v28, v28, v62
	v_fmac_f32_e32 v59, 0xbee1c552, v63
	;; [unrolled: 2-line block ×3, first 2 shown]
	v_add_f32_e32 v87, v92, v88
	v_sub_f32_e32 v88, v88, v92
	v_sub_f32_e32 v91, v28, v59
	v_add_f32_e32 v92, v59, v28
	v_add_f32_e32 v28, v111, v112
	v_sub_f32_e32 v93, v62, v90
	v_add_f32_e32 v90, v90, v62
	v_sub_f32_e32 v62, v111, v114
	v_sub_f32_e32 v63, v114, v112
	v_add_f32_e32 v28, v28, v114
	v_sub_f32_e32 v95, v113, v110
	v_sub_f32_e32 v59, v112, v111
	v_add_f32_e32 v94, v110, v113
	v_mul_f32_e32 v63, 0x3d64c772, v63
	v_sub_f32_e32 v97, v110, v109
	v_add_f32_e32 v2, v28, v2
	v_mul_f32_e32 v98, 0x3f4a47b2, v62
	v_mul_f32_e32 v95, 0x3f08b237, v95
	v_sub_f32_e32 v96, v109, v113
	v_add_f32_e32 v94, v109, v94
	v_fmamk_f32 v62, v62, 0x3f4a47b2, v63
	v_fma_f32 v63, 0x3f3bfb3b, v59, -v63
	v_mul_f32_e32 v99, 0xbf5ff5aa, v97
	v_fmamk_f32 v28, v28, 0xbf955555, v2
	v_fma_f32 v59, 0xbf3bfb3b, v59, -v98
	v_fma_f32 v97, 0xbf5ff5aa, v97, -v95
	v_fmamk_f32 v95, v96, 0xbeae86e6, v95
	v_fma_f32 v96, 0x3eae86e6, v96, -v99
	v_add_f32_e32 v98, v62, v28
	v_add_f32_e32 v62, v63, v28
	v_fmac_f32_e32 v97, 0xbee1c552, v94
	v_add_f32_e32 v28, v59, v28
	v_add_nc_u16 v59, v128, 0xc4
	v_mov_b32_e32 v99, 0x2493
	v_add_nc_u32_e32 v137, 0x126, v128
	v_fmac_f32_e32 v95, 0xbee1c552, v94
	v_fmac_f32_e32 v96, 0xbee1c552, v94
	v_and_b32_e32 v63, 0xff, v59
	v_add_f32_e32 v94, v97, v62
	v_sub_f32_e32 v97, v62, v97
	v_mul_u32_u24_sdwa v62, v137, v99 dst_sel:DWORD dst_unused:UNUSED_PAD src0_sel:WORD_0 src1_sel:DWORD
	ds_write2_b32 v64, v3, v80 offset0:4 offset1:5
	v_mul_lo_u16 v3, v63, 37
	v_sub_f32_e32 v80, v28, v96
	v_add_f32_e32 v96, v96, v28
	v_lshrrev_b32_e32 v28, 16, v62
	v_add_nc_u32_e32 v62, 0xf5, v128
	v_add_f32_e32 v34, v117, v74
	v_add_f32_e32 v74, v123, v124
	v_sub_f32_e32 v100, v98, v95
	v_lshrrev_b16 v3, 8, v3
	v_add_f32_e32 v95, v95, v98
	v_sub_nc_u16 v98, v137, v28
	v_mul_u32_u24_sdwa v99, v62, v99 dst_sel:DWORD dst_unused:UNUSED_PAD src0_sel:WORD_0 src1_sel:DWORD
	ds_write_b32 v64, v34 offset:24
	v_sub_nc_u16 v34, v59, v3
	ds_write_b32 v64, v74 offset:1396
	v_lshrrev_b16 v74, 1, v98
	v_lshrrev_b32_e32 v98, 16, v99
	ds_write_b32 v64, v78 offset:2768
	v_lshrrev_b16 v78, 1, v34
	ds_write2_b32 v64, v101, v102 offset0:2 offset1:3
	ds_write2_b32 v1, v81, v54 offset1:1
	v_sub_nc_u16 v34, v62, v98
	v_add_nc_u16 v1, v74, v28
	ds_write2_b32 v65, v0, v45 offset1:1
	ds_write_b32 v64, v75 offset:4140
	ds_write2_b32 v71, v31, v85 offset1:1
	v_add_nc_u16 v65, v128, 0x93
	ds_write2_b32 v66, v84, v79 offset1:1
	ds_write2_b32 v67, v83, v82 offset1:1
	ds_write_b32 v64, v86 offset:5512
	v_lshrrev_b16 v0, 1, v34
	v_lshrrev_b16 v28, 2, v1
	ds_write_b32 v64, v89 offset:6860
	ds_write2_b32 v77, v93, v91 offset1:1
	v_and_b32_e32 v67, 0xff, v65
	ds_write2_b32 v68, v87, v88 offset1:1
	ds_write2_b32 v72, v92, v90 offset1:1
	ds_write_b32 v64, v2 offset:8232
	v_add_nc_u16 v0, v0, v98
	v_mul_lo_u16 v1, v28, 7
	v_add_nc_u16 v64, v128, 0x62
	v_mov_b32_e32 v71, 6
	v_and_b32_e32 v54, 0x7f, v78
	v_lshrrev_b16 v34, 2, v0
	v_sub_nc_u16 v31, v137, v1
	v_mul_lo_u16 v1, v67, 37
	v_and_b32_e32 v66, 0xff, v64
	ds_write2_b32 v70, v100, v80 offset1:1
	ds_write2_b32 v73, v94, v97 offset1:1
	;; [unrolled: 1-line block ×3, first 2 shown]
	v_mul_lo_u16 v2, v34, 7
	v_add_nc_u16 v3, v54, v3
	v_lshrrev_b16 v1, 8, v1
	v_mul_lo_u16 v68, v66, 37
	v_and_b32_e32 v77, 0xff, v128
	v_sub_nc_u16 v45, v62, v2
	v_add_nc_u16 v2, v128, 49
	v_sub_nc_u16 v70, v65, v1
	v_lshrrev_b16 v68, 8, v68
	v_lshrrev_b16 v115, 2, v3
	v_mul_u32_u24_sdwa v54, v45, v71 dst_sel:DWORD dst_unused:UNUSED_PAD src0_sel:WORD_0 src1_sel:DWORD
	v_and_b32_e32 v76, 0xff, v2
	v_lshrrev_b16 v70, 1, v70
	v_mul_u32_u24_sdwa v0, v31, v71 dst_sel:DWORD dst_unused:UNUSED_PAD src0_sel:WORD_0 src1_sel:DWORD
	s_waitcnt lgkmcnt(0)
	v_lshlrev_b32_e32 v3, 3, v54
	v_mul_lo_u16 v54, v76, 37
	v_sub_nc_u16 v76, v64, v68
	v_and_b32_e32 v70, 0x7f, v70
	v_lshlrev_b32_e32 v0, 3, v0
	s_barrier
	v_lshrrev_b16 v54, 8, v54
	v_lshrrev_b16 v76, 1, v76
	v_add_nc_u16 v1, v70, v1
	v_mul_lo_u16 v70, v77, 37
	buffer_gl0_inv
	v_sub_nc_u16 v77, v2, v54
	v_and_b32_e32 v76, 0x7f, v76
	v_lshrrev_b16 v146, 2, v1
	v_lshrrev_b16 v1, 8, v70
	global_load_dwordx4 v[72:75], v0, s[12:13] offset:32
	v_lshrrev_b16 v80, 1, v77
	v_mul_lo_u16 v78, v115, 7
	v_add_nc_u16 v68, v76, v68
	v_sub_nc_u16 v82, v128, v1
	v_mul_lo_u16 v81, v146, 7
	v_and_b32_e32 v80, 0x7f, v80
	v_sub_nc_u16 v138, v59, v78
	global_load_dwordx4 v[76:79], v3, s[12:13] offset:32
	v_lshrrev_b16 v153, 2, v68
	v_lshrrev_b16 v68, 1, v82
	v_add_nc_u16 v54, v80, v54
	v_mul_u32_u24_sdwa v70, v138, v71 dst_sel:DWORD dst_unused:UNUSED_PAD src0_sel:BYTE_0 src1_sel:DWORD
	v_sub_nc_u16 v148, v65, v81
	v_mul_lo_u16 v80, v153, 7
	v_and_b32_e32 v68, 0x7f, v68
	v_lshrrev_b16 v159, 2, v54
	v_lshlrev_b32_e32 v70, 3, v70
	v_mul_u32_u24_sdwa v81, v148, v71 dst_sel:DWORD dst_unused:UNUSED_PAD src0_sel:BYTE_0 src1_sel:DWORD
	v_sub_nc_u16 v154, v64, v80
	v_add_nc_u16 v1, v68, v1
	v_mul_lo_u16 v68, v159, 7
	global_load_dwordx4 v[82:85], v70, s[12:13] offset:32
	v_lshlrev_b32_e32 v80, 3, v81
	v_mul_u32_u24_sdwa v81, v154, v71 dst_sel:DWORD dst_unused:UNUSED_PAD src0_sel:BYTE_0 src1_sel:DWORD
	v_lshrrev_b16 v54, 2, v1
	v_sub_nc_u16 v160, v2, v68
	v_mul_lo_u16 v67, 0x4f, v67
	global_load_dwordx4 v[86:89], v80, s[12:13] offset:32
	v_lshlrev_b32_e32 v1, 3, v81
	v_mul_lo_u16 v2, v54, 7
	v_mul_u32_u24_sdwa v68, v160, v71 dst_sel:DWORD dst_unused:UNUSED_PAD src0_sel:BYTE_0 src1_sel:DWORD
	v_lshrrev_b16 v67, 8, v67
	v_mul_lo_u16 v63, 0x4f, v63
	global_load_dwordx4 v[98:101], v1, s[12:13] offset:32
	v_sub_nc_u16 v161, v128, v2
	v_lshlrev_b32_e32 v2, 3, v68
	v_mul_u32_u24_sdwa v68, v161, v71 dst_sel:DWORD dst_unused:UNUSED_PAD src0_sel:BYTE_0 src1_sel:DWORD
	global_load_dwordx4 v[123:126], v2, s[12:13] offset:32
	v_lshlrev_b32_e32 v68, 3, v68
	s_clause 0xe
	global_load_dwordx4 v[139:142], v68, s[12:13] offset:32
	global_load_dwordx4 v[149:152], v0, s[12:13] offset:16
	;; [unrolled: 1-line block ×8, first 2 shown]
	global_load_dwordx4 v[182:185], v0, s[12:13]
	global_load_dwordx4 v[186:189], v3, s[12:13]
	;; [unrolled: 1-line block ×7, first 2 shown]
	ds_read_b32 v70, v129 offset:9408
	ds_read2_b32 v[80:81], v122 offset0:168 offset1:217
	ds_read2_b32 v[90:91], v132 offset0:206 offset1:255
	ds_read2_b32 v[93:94], v122 offset0:70 offset1:119
	ds_read2_b32 v[96:97], v132 offset0:108 offset1:157
	s_waitcnt vmcnt(20) lgkmcnt(4)
	v_mul_f32_e32 v68, v70, v75
	v_mul_f32_e32 v71, v69, v75
	v_fmac_f32_e32 v68, v69, v74
	s_waitcnt lgkmcnt(3)
	v_mul_f32_e32 v69, v81, v73
	v_fma_f32 v70, v70, v74, -v71
	v_mul_f32_e32 v74, v58, v73
	s_waitcnt vmcnt(19)
	v_mul_f32_e32 v71, v80, v77
	s_waitcnt lgkmcnt(2)
	v_mul_f32_e32 v73, v91, v79
	v_mul_f32_e32 v75, v57, v77
	v_fmac_f32_e32 v69, v58, v72
	v_fma_f32 v58, v81, v72, -v74
	v_fmac_f32_e32 v71, v57, v76
	v_mul_f32_e32 v72, v56, v79
	v_fmac_f32_e32 v73, v56, v78
	ds_read2_b32 v[56:57], v134 offset0:100 offset1:149
	v_fma_f32 v75, v80, v76, -v75
	v_fma_f32 v77, v91, v78, -v72
	ds_read2_b32 v[78:79], v132 offset0:10 offset1:59
	s_waitcnt vmcnt(18)
	v_mul_f32_e32 v81, v90, v85
	v_mul_f32_e32 v74, v55, v85
	s_waitcnt lgkmcnt(3)
	v_mul_f32_e32 v80, v94, v83
	v_fmac_f32_e32 v81, v55, v84
	v_mul_f32_e32 v55, v53, v83
	v_fma_f32 v83, v90, v84, -v74
	s_waitcnt vmcnt(17)
	v_mul_f32_e32 v90, v93, v87
	s_waitcnt lgkmcnt(2)
	v_mul_f32_e32 v92, v97, v89
	v_fmac_f32_e32 v80, v53, v82
	v_mul_f32_e32 v53, v52, v87
	v_fma_f32 v85, v94, v82, -v55
	v_fmac_f32_e32 v90, v52, v86
	v_mul_f32_e32 v55, v51, v89
	v_fmac_f32_e32 v92, v51, v88
	s_waitcnt vmcnt(16)
	v_mul_f32_e32 v103, v96, v101
	ds_read2_b32 v[51:52], v121 offset0:130 offset1:179
	s_waitcnt lgkmcnt(2)
	v_mul_f32_e32 v108, v57, v99
	v_fma_f32 v95, v93, v86, -v53
	v_mul_f32_e32 v53, v50, v101
	v_fmac_f32_e32 v103, v50, v100
	v_mul_f32_e32 v50, v47, v99
	v_fmac_f32_e32 v108, v47, v98
	s_waitcnt vmcnt(15)
	v_mul_f32_e32 v47, v46, v124
	v_fma_f32 v97, v97, v88, -v55
	v_mul_f32_e32 v118, v56, v124
	ds_read2_b32 v[86:87], v105 offset0:122 offset1:171
	s_waitcnt lgkmcnt(2)
	v_mul_f32_e32 v119, v79, v126
	v_fma_f32 v124, v56, v123, -v47
	ds_read2_b32 v[55:56], v121 offset0:32 offset1:81
	v_mul_f32_e32 v47, v42, v126
	v_fma_f32 v110, v96, v100, -v53
	v_fmac_f32_e32 v119, v42, v125
	v_fma_f32 v111, v57, v98, -v50
	v_fmac_f32_e32 v118, v46, v123
	v_fma_f32 v127, v79, v125, -v47
	s_waitcnt vmcnt(14) lgkmcnt(2)
	v_mul_f32_e32 v42, v52, v140
	v_mul_f32_e32 v47, v38, v140
	v_mul_f32_e32 v46, v78, v142
	v_mul_f32_e32 v50, v41, v142
	s_waitcnt vmcnt(13)
	v_mul_f32_e32 v57, v51, v152
	v_fmac_f32_e32 v42, v38, v139
	v_fma_f32 v38, v52, v139, -v47
	ds_read2_b32 v[52:53], v135 offset0:152 offset1:201
	v_mul_f32_e32 v47, v37, v152
	v_fmac_f32_e32 v46, v41, v141
	v_fma_f32 v41, v78, v141, -v50
	s_waitcnt lgkmcnt(2)
	v_mul_f32_e32 v72, v87, v150
	v_fmac_f32_e32 v57, v37, v151
	v_mul_f32_e32 v37, v49, v150
	s_waitcnt vmcnt(12)
	v_mul_f32_e32 v78, v86, v156
	v_fma_f32 v74, v51, v151, -v47
	v_mul_f32_e32 v47, v48, v156
	s_waitcnt lgkmcnt(1)
	v_mul_f32_e32 v79, v56, v158
	v_fmac_f32_e32 v72, v49, v149
	ds_read2_b32 v[49:50], v131 offset0:190 offset1:239
	v_fma_f32 v76, v87, v149, -v37
	v_fmac_f32_e32 v78, v48, v155
	v_mul_f32_e32 v37, v44, v158
	v_fma_f32 v82, v86, v155, -v47
	s_waitcnt vmcnt(11)
	v_mul_f32_e32 v89, v55, v165
	v_fmac_f32_e32 v79, v44, v157
	v_mul_f32_e32 v44, v43, v165
	ds_read2_b32 v[47:48], v135 offset0:54 offset1:103
	s_waitcnt lgkmcnt(2)
	v_mul_f32_e32 v91, v53, v163
	v_fmac_f32_e32 v89, v43, v164
	v_fma_f32 v84, v56, v157, -v37
	v_fma_f32 v93, v55, v164, -v44
	ds_read2_b32 v[43:44], v131 offset0:92 offset1:141
	v_mul_f32_e32 v37, v40, v163
	s_waitcnt vmcnt(10)
	v_mul_f32_e32 v100, v52, v167
	v_fmac_f32_e32 v91, v40, v162
	v_mul_f32_e32 v40, v39, v167
	ds_read2_b32 v[55:56], v129 offset1:49
	v_fma_f32 v96, v53, v162, -v37
	s_waitcnt lgkmcnt(3)
	v_mul_f32_e32 v101, v50, v169
	v_fmac_f32_e32 v100, v39, v166
	v_mul_f32_e32 v39, v36, v169
	v_fma_f32 v107, v52, v166, -v40
	s_waitcnt vmcnt(9)
	v_mul_f32_e32 v113, v49, v173
	v_mul_f32_e32 v40, v35, v173
	v_fmac_f32_e32 v101, v36, v168
	ds_read2_b32 v[36:37], v104 offset0:84 offset1:133
	s_waitcnt lgkmcnt(3)
	v_mul_f32_e32 v117, v48, v171
	v_fma_f32 v109, v50, v168, -v39
	v_fmac_f32_e32 v113, v35, v172
	v_mul_f32_e32 v35, v33, v171
	v_fma_f32 v123, v49, v172, -v40
	v_fmac_f32_e32 v117, v33, v170
	ds_read2_b32 v[39:40], v130 offset0:76 offset1:125
	s_waitcnt vmcnt(8)
	v_mul_f32_e32 v33, v32, v175
	s_waitcnt lgkmcnt(3)
	v_mul_f32_e32 v144, v44, v177
	v_mul_f32_e32 v141, v47, v175
	v_fma_f32 v126, v48, v170, -v35
	v_mul_f32_e32 v35, v27, v177
	v_fma_f32 v145, v47, v174, -v33
	v_fmac_f32_e32 v144, v27, v176
	s_waitcnt vmcnt(7)
	v_mul_f32_e32 v27, v43, v181
	v_mul_f32_e32 v33, v26, v181
	ds_read2_b32 v[47:48], v136 offset0:114 offset1:163
	v_fma_f32 v147, v44, v176, -v35
	s_waitcnt vmcnt(6)
	v_mul_f32_e32 v35, v24, v185
	v_fmac_f32_e32 v27, v26, v180
	v_fma_f32 v26, v43, v180, -v33
	ds_read2_b32 v[43:44], v120 offset0:106 offset1:155
	s_waitcnt lgkmcnt(3)
	v_mul_f32_e32 v86, v36, v185
	v_fmac_f32_e32 v141, v32, v174
	v_mul_f32_e32 v32, v37, v179
	v_mul_f32_e32 v33, v25, v179
	s_waitcnt lgkmcnt(2)
	v_mul_f32_e32 v87, v40, v183
	v_fmac_f32_e32 v86, v24, v184
	v_mul_f32_e32 v24, v30, v183
	s_waitcnt vmcnt(5)
	v_mul_f32_e32 v98, v39, v187
	v_fma_f32 v88, v36, v184, -v35
	v_fmac_f32_e32 v87, v30, v182
	v_mul_f32_e32 v30, v29, v187
	ds_read2_b32 v[35:36], v136 offset0:16 offset1:65
	v_fma_f32 v94, v40, v182, -v24
	v_mul_f32_e32 v24, v15, v189
	s_waitcnt lgkmcnt(2)
	v_mul_f32_e32 v99, v48, v189
	v_fmac_f32_e32 v98, v29, v186
	v_fma_f32 v102, v39, v186, -v30
	s_waitcnt vmcnt(4)
	v_mul_f32_e32 v112, v47, v193
	ds_read2_b32 v[29:30], v133 offset0:136 offset1:185
	v_fmac_f32_e32 v99, v15, v188
	v_mul_f32_e32 v15, v14, v193
	s_waitcnt lgkmcnt(2)
	v_mul_f32_e32 v114, v44, v191
	v_fmac_f32_e32 v32, v25, v178
	v_fma_f32 v25, v37, v178, -v33
	v_fma_f32 v106, v48, v188, -v24
	v_fmac_f32_e32 v112, v14, v192
	v_mul_f32_e32 v33, v23, v191
	v_fma_f32 v116, v47, v192, -v15
	v_fmac_f32_e32 v114, v23, v190
	ds_read2_b32 v[23:24], v130 offset0:174 offset1:223
	ds_read2_b32 v[14:15], v133 offset0:38 offset1:87
	s_waitcnt vmcnt(3)
	v_mul_f32_e32 v139, v43, v195
	s_waitcnt lgkmcnt(3)
	v_mul_f32_e32 v140, v36, v197
	s_waitcnt vmcnt(2)
	v_mul_f32_e32 v150, v35, v201
	v_mul_f32_e32 v37, v22, v195
	;; [unrolled: 1-line block ×3, first 2 shown]
	v_fmac_f32_e32 v139, v22, v194
	v_fmac_f32_e32 v140, v21, v196
	s_waitcnt lgkmcnt(2)
	v_mul_f32_e32 v149, v30, v199
	s_waitcnt vmcnt(1)
	v_mul_f32_e32 v155, v29, v203
	v_mul_f32_e32 v21, v20, v201
	;; [unrolled: 1-line block ×3, first 2 shown]
	v_fmac_f32_e32 v150, v20, v200
	v_fmac_f32_e32 v149, v19, v198
	;; [unrolled: 1-line block ×3, first 2 shown]
	v_mul_f32_e32 v20, v18, v203
	v_fma_f32 v151, v35, v200, -v21
	v_mul_f32_e32 v21, v17, v205
	v_fma_f32 v152, v30, v198, -v22
	s_waitcnt vmcnt(0) lgkmcnt(1)
	v_mul_f32_e32 v19, v23, v3
	s_waitcnt lgkmcnt(0)
	v_mul_f32_e32 v18, v15, v1
	v_mul_f32_e32 v156, v24, v205
	v_fma_f32 v157, v29, v202, -v20
	v_mul_f32_e32 v3, v16, v3
	v_fmac_f32_e32 v19, v16, v2
	v_fmac_f32_e32 v18, v7, v0
	;; [unrolled: 1-line block ×3, first 2 shown]
	v_mov_b32_e32 v16, 0xc4
	v_mov_b32_e32 v17, 2
	v_mul_f32_e32 v1, v7, v1
	v_add_f32_e32 v7, v18, v46
	v_add_f32_e32 v20, v19, v42
	v_fma_f32 v158, v24, v204, -v21
	v_mul_u32_u24_sdwa v21, v54, v16 dst_sel:DWORD dst_unused:UNUSED_PAD src0_sel:WORD_0 src1_sel:DWORD
	v_lshlrev_b32_sdwa v22, v17, v161 dst_sel:DWORD dst_unused:UNUSED_PAD src0_sel:DWORD src1_sel:BYTE_0
	v_fma_f32 v2, v23, v2, -v3
	v_add_f32_e32 v3, v32, v27
	v_add_f32_e32 v23, v20, v7
	v_fma_f32 v0, v15, v0, -v1
	v_add3_u32 v161, 0, v21, v22
	v_sub_f32_e32 v1, v2, v38
	v_sub_f32_e32 v22, v7, v3
	v_add_f32_e32 v21, v3, v23
	v_sub_f32_e32 v15, v26, v25
	v_sub_f32_e32 v3, v3, v20
	;; [unrolled: 1-line block ×3, first 2 shown]
	v_mul_f32_e32 v22, 0x3f4a47b2, v22
	v_add_f32_e32 v12, v12, v21
	v_sub_f32_e32 v24, v15, v1
	v_add_f32_e32 v29, v15, v1
	v_sub_f32_e32 v1, v1, v23
	v_fmamk_f32 v30, v3, 0x3d64c772, v22
	v_fmamk_f32 v21, v21, 0xbf955555, v12
	v_sub_f32_e32 v15, v23, v15
	v_mul_f32_e32 v24, 0x3f08b237, v24
	v_sub_f32_e32 v7, v20, v7
	v_mul_f32_e32 v3, 0x3d64c772, v3
	v_add_f32_e32 v20, v30, v21
	v_mul_f32_e32 v30, 0xbf5ff5aa, v1
	v_add_f32_e32 v29, v29, v23
	v_fmamk_f32 v23, v15, 0xbeae86e6, v24
	v_fma_f32 v3, 0x3f3bfb3b, v7, -v3
	v_fma_f32 v7, 0xbf3bfb3b, v7, -v22
	v_fma_f32 v15, 0x3eae86e6, v15, -v30
	v_fma_f32 v1, 0xbf5ff5aa, v1, -v24
	v_fmac_f32_e32 v23, 0xbee1c552, v29
	v_add_f32_e32 v3, v3, v21
	v_add_f32_e32 v7, v7, v21
	v_fmac_f32_e32 v15, 0xbee1c552, v29
	v_fmac_f32_e32 v1, 0xbee1c552, v29
	v_add_f32_e32 v21, v155, v119
	v_add_f32_e32 v22, v156, v118
	ds_read2_b32 v[53:54], v129 offset0:98 offset1:147
	v_add_f32_e32 v24, v15, v7
	v_sub_f32_e32 v29, v3, v1
	v_add_f32_e32 v1, v1, v3
	v_add_f32_e32 v3, v141, v144
	;; [unrolled: 1-line block ×3, first 2 shown]
	v_sub_f32_e32 v7, v7, v15
	v_add_f32_e32 v15, v23, v20
	ds_read2_b32 v[51:52], v129 offset0:196 offset1:245
	s_waitcnt lgkmcnt(0)
	s_barrier
	v_add_f32_e32 v30, v3, v30
	buffer_gl0_inv
	ds_write2_b32 v161, v12, v15 offset1:7
	ds_write2_b32 v161, v24, v29 offset0:14 offset1:21
	ds_write2_b32 v161, v1, v7 offset0:28 offset1:35
	v_sub_f32_e32 v7, v158, v124
	v_sub_f32_e32 v12, v147, v145
	;; [unrolled: 1-line block ×4, first 2 shown]
	v_fma_f32 v125, v44, v190, -v33
	v_add_f32_e32 v1, v13, v30
	v_sub_f32_e32 v33, v12, v7
	v_sub_f32_e32 v3, v3, v22
	v_mul_f32_e32 v15, 0x3f4a47b2, v15
	v_add_f32_e32 v35, v12, v7
	v_sub_f32_e32 v7, v7, v29
	v_fma_f32 v143, v36, v196, -v39
	v_sub_f32_e32 v12, v29, v12
	v_mul_f32_e32 v33, 0x3f08b237, v33
	v_fmamk_f32 v30, v30, 0xbf955555, v1
	v_fmamk_f32 v36, v3, 0x3d64c772, v15
	v_sub_f32_e32 v21, v22, v21
	v_mul_f32_e32 v3, 0x3d64c772, v3
	v_add_f32_e32 v22, v35, v29
	v_mul_f32_e32 v29, 0xbf5ff5aa, v7
	v_add_f32_e32 v35, v36, v30
	v_fmamk_f32 v36, v12, 0xbeae86e6, v33
	v_fma_f32 v3, 0x3f3bfb3b, v21, -v3
	v_fma_f32 v15, 0xbf3bfb3b, v21, -v15
	;; [unrolled: 1-line block ×4, first 2 shown]
	v_mul_u32_u24_sdwa v13, v159, v16 dst_sel:DWORD dst_unused:UNUSED_PAD src0_sel:WORD_0 src1_sel:DWORD
	v_lshlrev_b32_sdwa v24, v17, v160 dst_sel:DWORD dst_unused:UNUSED_PAD src0_sel:DWORD src1_sel:BYTE_0
	v_fmac_f32_e32 v36, 0xbee1c552, v22
	v_add_f32_e32 v3, v3, v30
	v_add_f32_e32 v15, v15, v30
	v_fmac_f32_e32 v12, 0xbee1c552, v22
	v_fmac_f32_e32 v7, 0xbee1c552, v22
	v_sub_f32_e32 v20, v20, v23
	v_add3_u32 v159, 0, v13, v24
	v_add_f32_e32 v23, v149, v103
	v_add_f32_e32 v24, v150, v108
	;; [unrolled: 1-line block ×4, first 2 shown]
	v_sub_f32_e32 v22, v3, v7
	ds_write_b32 v161, v20 offset:168
	ds_write2_b32 v159, v1, v13 offset1:7
	ds_write2_b32 v159, v21, v22 offset0:14 offset1:21
	v_add_f32_e32 v1, v117, v113
	v_add_f32_e32 v13, v24, v23
	;; [unrolled: 1-line block ×3, first 2 shown]
	v_sub_f32_e32 v7, v15, v12
	v_sub_f32_e32 v12, v151, v111
	;; [unrolled: 1-line block ×3, first 2 shown]
	v_add_f32_e32 v13, v1, v13
	v_sub_f32_e32 v20, v23, v1
	v_sub_f32_e32 v21, v152, v110
	;; [unrolled: 1-line block ×4, first 2 shown]
	v_add_f32_e32 v29, v15, v12
	v_add_f32_e32 v10, v10, v13
	v_mul_f32_e32 v20, 0x3f4a47b2, v20
	v_sub_f32_e32 v12, v12, v21
	v_sub_f32_e32 v15, v21, v15
	v_mul_f32_e32 v22, 0x3f08b237, v22
	ds_write2_b32 v159, v3, v7 offset0:28 offset1:35
	v_fmamk_f32 v3, v13, 0xbf955555, v10
	v_fmamk_f32 v7, v1, 0x3d64c772, v20
	v_add_f32_e32 v13, v29, v21
	v_sub_f32_e32 v21, v24, v23
	v_mul_f32_e32 v1, 0x3d64c772, v1
	v_mul_f32_e32 v24, 0xbf5ff5aa, v12
	v_fmamk_f32 v29, v15, 0xbeae86e6, v22
	v_fma_f32 v12, 0xbf5ff5aa, v12, -v22
	v_fma_f32 v20, 0xbf3bfb3b, v21, -v20
	;; [unrolled: 1-line block ×4, first 2 shown]
	v_add_f32_e32 v21, v139, v92
	v_add_f32_e32 v24, v140, v90
	v_mul_u32_u24_sdwa v30, v153, v16 dst_sel:DWORD dst_unused:UNUSED_PAD src0_sel:WORD_0 src1_sel:DWORD
	v_lshlrev_b32_sdwa v33, v17, v154 dst_sel:DWORD dst_unused:UNUSED_PAD src0_sel:DWORD src1_sel:BYTE_0
	v_add_f32_e32 v7, v7, v3
	v_fmac_f32_e32 v29, 0xbee1c552, v13
	v_sub_f32_e32 v23, v35, v36
	v_add_f32_e32 v1, v1, v3
	v_add_f32_e32 v3, v20, v3
	;; [unrolled: 1-line block ×4, first 2 shown]
	v_fmac_f32_e32 v15, 0xbee1c552, v13
	v_fmac_f32_e32 v12, 0xbee1c552, v13
	v_fma_f32 v142, v43, v194, -v37
	v_add3_u32 v153, 0, v30, v33
	v_add_f32_e32 v30, v29, v7
	ds_write_b32 v159, v23 offset:168
	ds_write2_b32 v153, v10, v30 offset1:7
	v_add_f32_e32 v10, v20, v22
	v_add_f32_e32 v13, v15, v3
	v_sub_f32_e32 v22, v1, v12
	v_add_f32_e32 v1, v12, v1
	v_sub_f32_e32 v3, v3, v15
	v_sub_f32_e32 v12, v143, v95
	;; [unrolled: 1-line block ×5, first 2 shown]
	v_add_f32_e32 v11, v11, v10
	v_sub_f32_e32 v20, v20, v24
	v_sub_f32_e32 v36, v15, v12
	v_mul_f32_e32 v30, 0x3f4a47b2, v30
	v_add_f32_e32 v37, v15, v12
	v_sub_f32_e32 v12, v12, v35
	v_sub_f32_e32 v15, v35, v15
	v_mul_f32_e32 v36, 0x3f08b237, v36
	v_fmamk_f32 v10, v10, 0xbf955555, v11
	v_fmamk_f32 v39, v20, 0x3d64c772, v30
	v_sub_f32_e32 v21, v24, v21
	v_mul_f32_e32 v20, 0x3d64c772, v20
	v_add_f32_e32 v24, v37, v35
	v_mul_f32_e32 v35, 0xbf5ff5aa, v12
	v_add_f32_e32 v37, v39, v10
	v_fmamk_f32 v39, v15, 0xbeae86e6, v36
	v_fma_f32 v20, 0x3f3bfb3b, v21, -v20
	v_fma_f32 v21, 0xbf3bfb3b, v21, -v30
	;; [unrolled: 1-line block ×4, first 2 shown]
	v_mul_u32_u24_sdwa v23, v146, v16 dst_sel:DWORD dst_unused:UNUSED_PAD src0_sel:WORD_0 src1_sel:DWORD
	v_lshlrev_b32_sdwa v33, v17, v148 dst_sel:DWORD dst_unused:UNUSED_PAD src0_sel:DWORD src1_sel:BYTE_0
	v_fmac_f32_e32 v39, 0xbee1c552, v24
	v_add_f32_e32 v20, v20, v10
	v_add_f32_e32 v10, v21, v10
	v_fmac_f32_e32 v15, 0xbee1c552, v24
	v_fmac_f32_e32 v12, 0xbee1c552, v24
	v_sub_f32_e32 v7, v7, v29
	v_add3_u32 v146, 0, v23, v33
	v_add_f32_e32 v21, v39, v37
	v_add_f32_e32 v23, v15, v10
	v_sub_f32_e32 v24, v20, v12
	ds_write2_b32 v153, v13, v22 offset0:14 offset1:21
	ds_write2_b32 v153, v1, v3 offset0:28 offset1:35
	ds_write_b32 v153, v7 offset:168
	ds_write2_b32 v146, v11, v21 offset1:7
	ds_write2_b32 v146, v23, v24 offset0:14 offset1:21
	v_add_f32_e32 v1, v12, v20
	v_sub_f32_e32 v3, v10, v15
	v_sub_f32_e32 v7, v37, v39
	v_add_f32_e32 v10, v114, v81
	v_add_f32_e32 v11, v112, v80
	v_mul_u32_u24_sdwa v12, v115, v16 dst_sel:DWORD dst_unused:UNUSED_PAD src0_sel:WORD_0 src1_sel:DWORD
	v_lshlrev_b32_sdwa v13, v17, v138 dst_sel:DWORD dst_unused:UNUSED_PAD src0_sel:DWORD src1_sel:BYTE_0
	ds_write2_b32 v146, v1, v3 offset0:28 offset1:35
	v_add_f32_e32 v1, v91, v89
	v_add_f32_e32 v3, v11, v10
	ds_write_b32 v146, v7 offset:168
	v_add3_u32 v138, 0, v12, v13
	v_sub_f32_e32 v7, v116, v85
	v_sub_f32_e32 v12, v93, v96
	;; [unrolled: 1-line block ×4, first 2 shown]
	v_add_f32_e32 v3, v1, v3
	v_sub_f32_e32 v1, v1, v11
	v_sub_f32_e32 v20, v12, v7
	v_mul_f32_e32 v13, 0x3f4a47b2, v13
	v_add_f32_e32 v21, v12, v7
	v_sub_f32_e32 v7, v7, v15
	v_add_f32_e32 v8, v8, v3
	v_sub_f32_e32 v12, v15, v12
	v_mul_f32_e32 v20, 0x3f08b237, v20
	v_fmamk_f32 v22, v1, 0x3d64c772, v13
	v_sub_f32_e32 v10, v11, v10
	v_mul_f32_e32 v1, 0x3d64c772, v1
	v_add_f32_e32 v11, v21, v15
	v_mul_f32_e32 v21, 0xbf5ff5aa, v7
	v_fmamk_f32 v3, v3, 0xbf955555, v8
	v_fmamk_f32 v15, v12, 0xbeae86e6, v20
	v_fma_f32 v1, 0x3f3bfb3b, v10, -v1
	v_fma_f32 v10, 0xbf3bfb3b, v10, -v13
	;; [unrolled: 1-line block ×4, first 2 shown]
	v_add_f32_e32 v22, v22, v3
	v_fmac_f32_e32 v15, 0xbee1c552, v11
	v_add_f32_e32 v1, v1, v3
	v_add_f32_e32 v3, v10, v3
	v_fmac_f32_e32 v12, 0xbee1c552, v11
	v_fmac_f32_e32 v7, 0xbee1c552, v11
	v_add_f32_e32 v10, v98, v73
	v_add_f32_e32 v13, v99, v71
	;; [unrolled: 1-line block ×5, first 2 shown]
	v_sub_f32_e32 v3, v3, v12
	v_sub_f32_e32 v12, v22, v15
	;; [unrolled: 1-line block ×3, first 2 shown]
	v_add_f32_e32 v1, v7, v1
	v_add_f32_e32 v21, v13, v10
	ds_write2_b32 v138, v8, v11 offset1:7
	ds_write2_b32 v138, v23, v24 offset0:14 offset1:21
	ds_write2_b32 v138, v1, v3 offset0:28 offset1:35
	ds_write_b32 v138, v12 offset:168
	v_sub_f32_e32 v3, v106, v75
	v_sub_f32_e32 v8, v84, v82
	;; [unrolled: 1-line block ×4, first 2 shown]
	v_add_f32_e32 v7, v20, v21
	v_sub_f32_e32 v20, v20, v13
	v_add_f32_e32 v21, v8, v3
	v_sub_f32_e32 v22, v8, v3
	v_mul_f32_e32 v12, 0x3f4a47b2, v12
	v_sub_f32_e32 v3, v3, v15
	v_add_f32_e32 v1, v9, v7
	v_sub_f32_e32 v8, v15, v8
	v_add_f32_e32 v21, v21, v15
	v_mul_f32_e32 v15, 0x3f08b237, v22
	v_fmamk_f32 v22, v20, 0x3d64c772, v12
	v_sub_f32_e32 v10, v13, v10
	v_mul_f32_e32 v13, 0xbf5ff5aa, v3
	v_mul_f32_e32 v20, 0x3d64c772, v20
	v_mul_u32_u24_sdwa v9, v34, v16 dst_sel:DWORD dst_unused:UNUSED_PAD src0_sel:WORD_0 src1_sel:DWORD
	v_lshlrev_b32_sdwa v11, v17, v45 dst_sel:DWORD dst_unused:UNUSED_PAD src0_sel:DWORD src1_sel:WORD_0
	v_fmamk_f32 v7, v7, 0xbf955555, v1
	v_fmamk_f32 v23, v8, 0xbeae86e6, v15
	v_fma_f32 v12, 0xbf3bfb3b, v10, -v12
	v_fma_f32 v8, 0x3eae86e6, v8, -v13
	;; [unrolled: 1-line block ×4, first 2 shown]
	v_add_f32_e32 v22, v22, v7
	v_fmac_f32_e32 v23, 0xbee1c552, v21
	v_add_f32_e32 v12, v12, v7
	v_fmac_f32_e32 v8, 0xbee1c552, v21
	v_add3_u32 v148, 0, v9, v11
	v_add_f32_e32 v7, v10, v7
	v_fmac_f32_e32 v3, 0xbee1c552, v21
	v_add_f32_e32 v11, v87, v68
	v_add_f32_e32 v13, v86, v69
	;; [unrolled: 1-line block ×4, first 2 shown]
	v_sub_f32_e32 v15, v7, v3
	v_add_f32_e32 v3, v3, v7
	v_sub_f32_e32 v7, v12, v8
	v_add_f32_e32 v8, v72, v57
	v_add_f32_e32 v12, v13, v11
	ds_write2_b32 v148, v1, v9 offset1:7
	ds_write2_b32 v148, v10, v15 offset0:14 offset1:21
	ds_write2_b32 v148, v3, v7 offset0:28 offset1:35
	v_sub_f32_e32 v1, v22, v23
	v_sub_f32_e32 v10, v88, v58
	v_mul_u32_u24_sdwa v7, v28, v16 dst_sel:DWORD dst_unused:UNUSED_PAD src0_sel:WORD_0 src1_sel:DWORD
	v_add_f32_e32 v3, v8, v12
	v_sub_f32_e32 v12, v74, v76
	ds_write_b32 v148, v1 offset:168
	v_sub_f32_e32 v1, v11, v8
	v_sub_f32_e32 v15, v94, v70
	v_lshlrev_b32_sdwa v9, v17, v31 dst_sel:DWORD dst_unused:UNUSED_PAD src0_sel:DWORD src1_sel:WORD_0
	v_sub_f32_e32 v16, v12, v10
	v_add_f32_e32 v6, v6, v3
	v_add_f32_e32 v17, v12, v10
	v_sub_f32_e32 v8, v8, v13
	v_mul_f32_e32 v1, 0x3f4a47b2, v1
	v_sub_f32_e32 v12, v15, v12
	v_mul_f32_e32 v16, 0x3f08b237, v16
	v_sub_f32_e32 v10, v10, v15
	v_add_f32_e32 v17, v17, v15
	v_fmamk_f32 v3, v3, 0xbf955555, v6
	v_fmamk_f32 v20, v8, 0x3d64c772, v1
	;; [unrolled: 1-line block ×3, first 2 shown]
	v_sub_f32_e32 v11, v13, v11
	v_mul_f32_e32 v8, 0x3d64c772, v8
	v_add3_u32 v154, 0, v7, v9
	v_mul_f32_e32 v7, 0xbf5ff5aa, v10
	v_add_f32_e32 v9, v20, v3
	v_fmac_f32_e32 v15, 0xbee1c552, v17
	v_fma_f32 v8, 0x3f3bfb3b, v11, -v8
	v_fma_f32 v1, 0xbf3bfb3b, v11, -v1
	;; [unrolled: 1-line block ×4, first 2 shown]
	v_add_f32_e32 v11, v15, v9
	v_add_f32_e32 v8, v8, v3
	;; [unrolled: 1-line block ×3, first 2 shown]
	v_fmac_f32_e32 v7, 0xbee1c552, v17
	v_fmac_f32_e32 v10, 0xbee1c552, v17
	v_add_f32_e32 v160, v0, v41
	v_add_f32_e32 v162, v2, v38
	ds_write2_b32 v154, v6, v11 offset1:7
	v_add_f32_e32 v0, v7, v1
	v_sub_f32_e32 v2, v8, v10
	v_add_f32_e32 v3, v10, v8
	v_add_f32_e32 v6, v25, v26
	;; [unrolled: 1-line block ×3, first 2 shown]
	v_sub_f32_e32 v1, v1, v7
	v_sub_f32_e32 v163, v19, v42
	;; [unrolled: 1-line block ×4, first 2 shown]
	v_add_f32_e32 v8, v6, v8
	v_sub_f32_e32 v10, v160, v6
	v_sub_f32_e32 v165, v6, v162
	;; [unrolled: 1-line block ×3, first 2 shown]
	v_add_f32_e32 v11, v7, v163
	v_sub_f32_e32 v166, v164, v7
	v_add_f32_e32 v55, v55, v8
	v_mul_f32_e32 v167, 0x3f4a47b2, v10
	v_mul_f32_e32 v168, 0x3f08b237, v6
	v_add_f32_e32 v169, v11, v164
	v_sub_f32_e32 v163, v163, v164
	v_fmamk_f32 v170, v8, 0xbf955555, v55
	v_fmamk_f32 v7, v165, 0x3d64c772, v167
	;; [unrolled: 1-line block ×3, first 2 shown]
	v_sub_f32_e32 v160, v162, v160
	v_mul_f32_e32 v162, 0x3d64c772, v165
	v_mul_f32_e32 v165, 0xbf5ff5aa, v163
	v_add_f32_e32 v172, v7, v170
	v_fmac_f32_e32 v171, 0xbee1c552, v169
	v_add_f32_e32 v127, v157, v127
	v_add_f32_e32 v124, v158, v124
	v_sub_f32_e32 v6, v9, v15
	ds_write2_b32 v154, v0, v2 offset0:14 offset1:21
	ds_write2_b32 v154, v3, v1 offset0:28 offset1:35
	ds_write_b32 v154, v6 offset:168
	v_sub_f32_e32 v164, v172, v171
	s_waitcnt lgkmcnt(0)
	s_barrier
	buffer_gl0_inv
	ds_read_b32 v115, v129 offset:9408
	ds_read2_b32 v[8:9], v129 offset1:49
	ds_read2_b32 v[0:1], v133 offset0:38 offset1:87
	ds_read2_b32 v[12:13], v130 offset0:174 offset1:223
	;; [unrolled: 1-line block ×23, first 2 shown]
	s_waitcnt lgkmcnt(0)
	s_barrier
	buffer_gl0_inv
	ds_write2_b32 v161, v55, v164 offset1:7
	v_fma_f32 v55, 0x3f3bfb3b, v160, -v162
	v_fma_f32 v160, 0xbf3bfb3b, v160, -v167
	v_fma_f32 v162, 0x3eae86e6, v166, -v165
	v_fma_f32 v157, 0xbf5ff5aa, v163, -v168
	v_add_f32_e32 v145, v145, v147
	v_add_f32_e32 v147, v124, v127
	v_sub_f32_e32 v118, v156, v118
	v_sub_f32_e32 v141, v144, v141
	v_add_f32_e32 v158, v160, v170
	v_fmac_f32_e32 v162, 0xbee1c552, v169
	v_add_f32_e32 v55, v55, v170
	v_fmac_f32_e32 v157, 0xbee1c552, v169
	v_add_f32_e32 v147, v145, v147
	v_sub_f32_e32 v119, v155, v119
	v_sub_f32_e32 v155, v127, v145
	;; [unrolled: 1-line block ×4, first 2 shown]
	v_add_f32_e32 v144, v157, v55
	v_add_f32_e32 v56, v56, v147
	v_sub_f32_e32 v145, v145, v124
	v_add_f32_e32 v163, v141, v118
	v_mul_f32_e32 v155, 0x3f4a47b2, v155
	v_sub_f32_e32 v141, v119, v141
	v_mul_f32_e32 v156, 0x3f08b237, v156
	ds_write2_b32 v161, v160, v144 offset0:14 offset1:21
	v_add_f32_e32 v144, v163, v119
	v_fmamk_f32 v147, v147, 0xbf955555, v56
	v_fmamk_f32 v160, v145, 0x3d64c772, v155
	;; [unrolled: 1-line block ×3, first 2 shown]
	v_sub_f32_e32 v55, v55, v157
	v_add_f32_e32 v157, v162, v158
	v_add_f32_e32 v158, v171, v172
	v_add_f32_e32 v160, v160, v147
	v_fmac_f32_e32 v163, 0xbee1c552, v144
	v_sub_f32_e32 v118, v118, v119
	v_sub_f32_e32 v119, v124, v127
	v_mul_f32_e32 v124, 0x3d64c772, v145
	ds_write2_b32 v161, v55, v157 offset0:28 offset1:35
	v_sub_f32_e32 v55, v160, v163
	ds_write_b32 v161, v158 offset:168
	v_add_f32_e32 v110, v152, v110
	v_fma_f32 v124, 0x3f3bfb3b, v119, -v124
	v_add_f32_e32 v111, v151, v111
	ds_write2_b32 v159, v56, v55 offset1:7
	v_fma_f32 v56, 0xbf5ff5aa, v118, -v156
	v_mul_f32_e32 v127, 0xbf5ff5aa, v118
	v_add_f32_e32 v118, v124, v147
	v_sub_f32_e32 v108, v150, v108
	v_add_f32_e32 v123, v126, v123
	v_fmac_f32_e32 v56, 0xbee1c552, v144
	v_add_f32_e32 v124, v111, v110
	v_sub_f32_e32 v113, v113, v117
	v_sub_f32_e32 v103, v149, v103
	v_fma_f32 v55, 0x3eae86e6, v141, -v127
	v_add_f32_e32 v117, v56, v118
	v_sub_f32_e32 v56, v118, v56
	v_add_f32_e32 v118, v123, v124
	v_add_f32_e32 v124, v113, v108
	v_sub_f32_e32 v126, v110, v123
	v_sub_f32_e32 v127, v113, v108
	;; [unrolled: 1-line block ×4, first 2 shown]
	v_add_f32_e32 v124, v124, v103
	v_sub_f32_e32 v103, v108, v103
	v_mul_f32_e32 v126, 0x3f4a47b2, v126
	v_add_f32_e32 v53, v53, v118
	v_mul_f32_e32 v127, 0x3f08b237, v127
	v_sub_f32_e32 v110, v111, v110
	v_mul_f32_e32 v108, 0x3d64c772, v123
	v_mul_f32_e32 v141, 0xbf5ff5aa, v103
	v_fma_f32 v119, 0xbf3bfb3b, v119, -v155
	v_fmamk_f32 v111, v118, 0xbf955555, v53
	v_fmamk_f32 v118, v123, 0x3d64c772, v126
	;; [unrolled: 1-line block ×3, first 2 shown]
	v_fma_f32 v108, 0x3f3bfb3b, v110, -v108
	v_fma_f32 v110, 0xbf3bfb3b, v110, -v126
	;; [unrolled: 1-line block ×4, first 2 shown]
	v_add_f32_e32 v119, v119, v147
	v_fmac_f32_e32 v55, 0xbee1c552, v144
	v_add_f32_e32 v118, v118, v111
	v_fmac_f32_e32 v123, 0xbee1c552, v124
	v_add_f32_e32 v108, v108, v111
	v_add_f32_e32 v110, v110, v111
	v_fmac_f32_e32 v113, 0xbee1c552, v124
	v_fmac_f32_e32 v103, 0xbee1c552, v124
	v_sub_f32_e32 v126, v119, v55
	v_add_f32_e32 v55, v55, v119
	v_add_f32_e32 v111, v163, v160
	v_sub_f32_e32 v119, v118, v123
	v_sub_f32_e32 v124, v110, v113
	v_add_f32_e32 v127, v103, v108
	ds_write2_b32 v159, v126, v117 offset0:14 offset1:21
	ds_write2_b32 v159, v56, v55 offset0:28 offset1:35
	ds_write_b32 v159, v111 offset:168
	ds_write2_b32 v153, v53, v119 offset1:7
	ds_write2_b32 v153, v124, v127 offset0:14 offset1:21
	v_add_f32_e32 v53, v142, v97
	v_add_f32_e32 v55, v143, v95
	v_sub_f32_e32 v56, v139, v92
	v_add_f32_e32 v92, v107, v109
	v_sub_f32_e32 v90, v140, v90
	v_sub_f32_e32 v100, v101, v100
	v_add_f32_e32 v97, v55, v53
	v_sub_f32_e32 v101, v55, v53
	v_sub_f32_e32 v53, v53, v92
	;; [unrolled: 1-line block ×4, first 2 shown]
	v_add_f32_e32 v92, v92, v97
	v_add_f32_e32 v97, v100, v90
	v_sub_f32_e32 v100, v56, v100
	v_sub_f32_e32 v90, v90, v56
	v_mul_f32_e32 v109, 0x3f4a47b2, v53
	v_add_f32_e32 v53, v54, v92
	v_add_f32_e32 v56, v97, v56
	v_mul_f32_e32 v97, 0x3d64c772, v55
	v_mul_f32_e32 v54, 0x3f08b237, v107
	;; [unrolled: 1-line block ×3, first 2 shown]
	v_fmamk_f32 v92, v92, 0xbf955555, v53
	v_fmamk_f32 v55, v55, 0x3d64c772, v109
	v_fma_f32 v97, 0x3f3bfb3b, v101, -v97
	v_fma_f32 v90, 0xbf5ff5aa, v90, -v54
	;; [unrolled: 1-line block ×4, first 2 shown]
	v_fmamk_f32 v100, v100, 0xbeae86e6, v54
	v_add_f32_e32 v97, v97, v92
	v_fmac_f32_e32 v90, 0xbee1c552, v56
	v_add_f32_e32 v109, v55, v92
	v_add_f32_e32 v85, v116, v85
	v_fmac_f32_e32 v100, 0xbee1c552, v56
	v_sub_f32_e32 v81, v114, v81
	v_add_f32_e32 v54, v90, v97
	v_sub_f32_e32 v55, v97, v90
	v_add_f32_e32 v97, v125, v83
	v_add_f32_e32 v93, v96, v93
	v_sub_f32_e32 v80, v112, v80
	v_sub_f32_e32 v89, v89, v91
	v_add_f32_e32 v101, v101, v92
	v_add_f32_e32 v96, v85, v97
	v_fmac_f32_e32 v107, 0xbee1c552, v56
	v_sub_f32_e32 v92, v109, v100
	v_add_f32_e32 v83, v100, v109
	v_sub_f32_e32 v91, v85, v97
	v_sub_f32_e32 v97, v97, v93
	;; [unrolled: 1-line block ×3, first 2 shown]
	v_add_f32_e32 v93, v93, v96
	v_add_f32_e32 v96, v89, v80
	v_sub_f32_e32 v100, v89, v80
	v_sub_f32_e32 v80, v80, v81
	;; [unrolled: 1-line block ×3, first 2 shown]
	v_add_f32_e32 v90, v107, v101
	v_sub_f32_e32 v89, v81, v89
	v_mul_f32_e32 v97, 0x3f4a47b2, v97
	v_add_f32_e32 v81, v96, v81
	v_mul_f32_e32 v96, 0x3d64c772, v85
	v_add_f32_e32 v51, v51, v93
	v_mul_f32_e32 v100, 0x3f08b237, v100
	v_mul_f32_e32 v101, 0xbf5ff5aa, v80
	v_fmamk_f32 v85, v85, 0x3d64c772, v97
	v_fma_f32 v96, 0x3f3bfb3b, v91, -v96
	v_fmamk_f32 v93, v93, 0xbf955555, v51
	v_fma_f32 v80, 0xbf5ff5aa, v80, -v100
	v_fma_f32 v91, 0xbf3bfb3b, v91, -v97
	;; [unrolled: 1-line block ×3, first 2 shown]
	v_fmamk_f32 v89, v89, 0xbeae86e6, v100
	v_add_f32_e32 v77, v102, v77
	v_add_f32_e32 v75, v106, v75
	;; [unrolled: 1-line block ×3, first 2 shown]
	v_fmac_f32_e32 v80, 0xbee1c552, v81
	v_add_f32_e32 v85, v85, v93
	v_fmac_f32_e32 v89, 0xbee1c552, v81
	v_add_f32_e32 v82, v82, v84
	v_sub_f32_e32 v71, v99, v71
	v_add_f32_e32 v84, v75, v77
	v_sub_f32_e32 v78, v79, v78
	v_fmac_f32_e32 v97, 0xbee1c552, v81
	v_add_f32_e32 v81, v80, v96
	v_sub_f32_e32 v80, v96, v80
	v_sub_f32_e32 v96, v85, v89
	v_add_f32_e32 v85, v89, v85
	v_sub_f32_e32 v73, v98, v73
	v_sub_f32_e32 v79, v75, v77
	;; [unrolled: 1-line block ×4, first 2 shown]
	v_add_f32_e32 v82, v82, v84
	v_add_f32_e32 v84, v78, v71
	v_sub_f32_e32 v89, v78, v71
	v_add_f32_e32 v91, v91, v93
	v_sub_f32_e32 v78, v73, v78
	v_sub_f32_e32 v71, v71, v73
	v_add_f32_e32 v73, v84, v73
	v_mul_f32_e32 v84, 0x3d64c772, v75
	v_add_f32_e32 v52, v52, v82
	v_mul_f32_e32 v89, 0x3f08b237, v89
	v_sub_f32_e32 v93, v91, v97
	v_add_f32_e32 v91, v97, v91
	v_mul_f32_e32 v77, 0x3f4a47b2, v77
	v_mul_f32_e32 v97, 0xbf5ff5aa, v71
	v_fma_f32 v84, 0x3f3bfb3b, v79, -v84
	v_fmamk_f32 v82, v82, 0xbf955555, v52
	v_fma_f32 v71, 0xbf5ff5aa, v71, -v89
	v_add_f32_e32 v70, v94, v70
	v_add_f32_e32 v58, v88, v58
	;; [unrolled: 1-line block ×3, first 2 shown]
	v_fmamk_f32 v75, v75, 0x3d64c772, v77
	v_fma_f32 v77, 0xbf3bfb3b, v79, -v77
	v_fma_f32 v79, 0x3eae86e6, v78, -v97
	v_fmamk_f32 v78, v78, 0xbeae86e6, v89
	v_add_f32_e32 v84, v84, v82
	v_fmac_f32_e32 v71, 0xbee1c552, v73
	v_sub_f32_e32 v69, v86, v69
	v_add_f32_e32 v76, v58, v70
	v_sub_f32_e32 v57, v57, v72
	v_sub_f32_e32 v72, v58, v70
	;; [unrolled: 1-line block ×3, first 2 shown]
	v_add_f32_e32 v77, v77, v82
	v_fmac_f32_e32 v79, 0xbee1c552, v73
	v_add_f32_e32 v75, v75, v82
	v_fmac_f32_e32 v78, 0xbee1c552, v73
	v_add_f32_e32 v73, v71, v84
	v_sub_f32_e32 v71, v84, v71
	v_sub_f32_e32 v68, v87, v68
	;; [unrolled: 1-line block ×3, first 2 shown]
	v_add_f32_e32 v74, v74, v76
	v_add_f32_e32 v76, v57, v69
	v_mul_f32_e32 v84, 0x3d64c772, v58
	v_sub_f32_e32 v82, v77, v79
	v_add_f32_e32 v77, v79, v77
	v_sub_f32_e32 v79, v75, v78
	v_add_f32_e32 v75, v78, v75
	v_sub_f32_e32 v78, v57, v69
	v_sub_f32_e32 v57, v68, v57
	;; [unrolled: 1-line block ×3, first 2 shown]
	v_mul_f32_e32 v70, 0x3f4a47b2, v70
	v_add_f32_e32 v68, v76, v68
	v_fma_f32 v76, 0x3f3bfb3b, v72, -v84
	v_sub_nc_u16 v84, v65, v67
	v_mul_f32_e32 v78, 0x3f08b237, v78
	v_fmamk_f32 v58, v58, 0x3d64c772, v70
	v_fma_f32 v70, 0xbf3bfb3b, v72, -v70
	v_mul_f32_e32 v72, 0xbf5ff5aa, v69
	v_lshrrev_b16 v84, 1, v84
	v_fma_f32 v69, 0xbf5ff5aa, v69, -v78
	v_fmamk_f32 v78, v57, 0xbeae86e6, v78
	v_sub_f32_e32 v103, v108, v103
	v_fma_f32 v57, 0x3eae86e6, v57, -v72
	v_and_b32_e32 v72, 0x7f, v84
	v_add_f32_e32 v108, v113, v110
	v_add_f32_e32 v95, v123, v118
	;; [unrolled: 1-line block ×3, first 2 shown]
	v_fmac_f32_e32 v69, 0xbee1c552, v68
	v_add_nc_u16 v67, v72, v67
	ds_write2_b32 v153, v103, v108 offset0:28 offset1:35
	ds_write_b32 v153, v95 offset:168
	ds_write2_b32 v146, v53, v92 offset1:7
	ds_write2_b32 v146, v56, v54 offset0:14 offset1:21
	ds_write2_b32 v146, v55, v90 offset0:28 offset1:35
	v_lshrrev_b16 v54, 8, v63
	v_lshrrev_b16 v67, 5, v67
	ds_write_b32 v146, v83 offset:168
	ds_write2_b32 v138, v51, v96 offset1:7
	ds_write2_b32 v138, v93, v81 offset0:14 offset1:21
	ds_write2_b32 v138, v80, v91 offset0:28 offset1:35
	v_fmamk_f32 v74, v74, 0xbf955555, v14
	v_fmac_f32_e32 v57, 0xbee1c552, v68
	v_sub_nc_u16 v51, v59, v54
	v_mul_lo_u16 v67, v67, 49
	v_fmac_f32_e32 v78, 0xbee1c552, v68
	v_add_f32_e32 v58, v58, v74
	v_add_f32_e32 v70, v70, v74
	v_lshrrev_b16 v51, 1, v51
	v_sub_nc_u16 v53, v65, v67
	ds_write_b32 v138, v85 offset:168
	ds_write2_b32 v148, v52, v79 offset1:7
	v_add_f32_e32 v76, v76, v74
	v_and_b32_e32 v51, 0x7f, v51
	v_and_b32_e32 v68, 0xff, v53
	v_mov_b32_e32 v53, 0x4e5f
	v_sub_f32_e32 v74, v70, v57
	v_add_f32_e32 v57, v57, v70
	v_sub_f32_e32 v70, v58, v78
	ds_write2_b32 v148, v82, v73 offset0:14 offset1:21
	ds_write2_b32 v148, v71, v77 offset0:28 offset1:35
	v_mul_u32_u24_sdwa v52, v62, v53 dst_sel:DWORD dst_unused:UNUSED_PAD src0_sel:WORD_0 src1_sel:DWORD
	ds_write_b32 v148, v75 offset:168
	ds_write2_b32 v154, v14, v70 offset1:7
	v_add_nc_u16 v51, v51, v54
	v_add_f32_e32 v72, v69, v76
	v_lshrrev_b32_e32 v14, 16, v52
	v_sub_f32_e32 v69, v76, v69
	v_mul_u32_u24_sdwa v52, v137, v53 dst_sel:DWORD dst_unused:UNUSED_PAD src0_sel:WORD_0 src1_sel:DWORD
	v_lshrrev_b16 v51, 5, v51
	v_mul_lo_u16 v54, 0x4f, v66
	v_sub_nc_u16 v53, v62, v14
	ds_write2_b32 v154, v69, v57 offset0:28 offset1:35
	v_lshrrev_b32_e32 v52, 16, v52
	v_mul_lo_u16 v51, v51, 49
	v_lshrrev_b16 v57, 8, v54
	v_lshrrev_b16 v53, 1, v53
	v_add_f32_e32 v58, v78, v58
	v_sub_nc_u16 v54, v137, v52
	v_sub_nc_u16 v51, v59, v51
	v_mul_u32_u24_e32 v55, 6, v68
	v_add_nc_u16 v14, v53, v14
	v_sub_nc_u16 v53, v64, v57
	v_lshrrev_b16 v54, 1, v54
	v_and_b32_e32 v67, 0xff, v51
	v_lshlrev_b32_e32 v56, 3, v55
	v_lshrrev_b16 v14, 5, v14
	v_lshrrev_b16 v51, 1, v53
	v_add_nc_u16 v52, v54, v52
	ds_write_b32 v154, v58 offset:168
	v_mul_u32_u24_e32 v58, 6, v67
	v_mul_lo_u16 v14, v14, 49
	v_and_b32_e32 v51, 0x7f, v51
	v_lshrrev_b16 v59, 5, v52
	ds_write2_b32 v154, v74, v72 offset0:14 offset1:21
	s_waitcnt lgkmcnt(0)
	v_sub_nc_u16 v14, v62, v14
	v_add_nc_u16 v51, v51, v57
	s_barrier
	buffer_gl0_inv
	global_load_dwordx4 v[52:55], v56, s[12:13] offset:368
	v_lshlrev_b32_e32 v58, 3, v58
	v_mul_lo_u16 v57, v59, 49
	v_and_b32_e32 v66, 0xffff, v14
	v_lshrrev_b16 v14, 5, v51
	v_mul_u32_u24_e32 v59, 6, v128
	global_load_dwordx4 v[69:72], v58, s[12:13] offset:368
	v_sub_nc_u16 v51, v137, v57
	v_mul_u32_u24_e32 v57, 6, v66
	v_mul_lo_u16 v14, v14, 49
	v_lshlrev_b32_e32 v100, 3, v59
	v_and_b32_e32 v65, 0xffff, v51
	v_lshlrev_b32_e32 v51, 3, v57
	v_sub_nc_u16 v14, v64, v14
	v_mul_u32_u24_e32 v57, 6, v65
	global_load_dwordx4 v[76:79], v51, s[12:13] offset:368
	v_and_b32_e32 v75, 0xff, v14
	v_lshlrev_b32_e32 v14, 3, v57
	v_mul_u32_u24_e32 v57, 6, v75
	global_load_dwordx4 v[80:83], v14, s[12:13] offset:368
	v_lshlrev_b32_e32 v57, 3, v57
	s_clause 0xd
	global_load_dwordx4 v[84:87], v57, s[12:13] offset:368
	global_load_dwordx4 v[88:91], v100, s[12:13] offset:368
	;; [unrolled: 1-line block ×14, first 2 shown]
	ds_read2_b32 v[62:63], v122 offset0:70 offset1:119
	ds_read2_b32 v[73:74], v132 offset0:108 offset1:157
	ds_read2_b32 v[101:102], v132 offset0:206 offset1:255
	ds_read2_b32 v[106:107], v122 offset0:168 offset1:217
	s_waitcnt vmcnt(17) lgkmcnt(3)
	v_mul_f32_e32 v56, v62, v53
	v_mul_f32_e32 v14, v49, v53
	s_waitcnt lgkmcnt(2)
	v_mul_f32_e32 v57, v74, v55
	v_mul_f32_e32 v51, v44, v55
	v_fmac_f32_e32 v56, v49, v52
	s_waitcnt vmcnt(16)
	v_mul_f32_e32 v49, v50, v70
	v_fma_f32 v58, v62, v52, -v14
	v_mul_f32_e32 v52, v63, v70
	ds_read_b32 v14, v129 offset:9408
	v_fmac_f32_e32 v57, v44, v54
	s_waitcnt lgkmcnt(2)
	v_mul_f32_e32 v53, v101, v72
	v_fma_f32 v59, v74, v54, -v51
	v_fma_f32 v54, v63, v69, -v49
	v_mul_f32_e32 v44, v47, v72
	ds_read2_b32 v[62:63], v134 offset0:100 offset1:149
	v_fmac_f32_e32 v53, v47, v71
	v_fmac_f32_e32 v52, v50, v69
	s_waitcnt vmcnt(15) lgkmcnt(2)
	v_mul_f32_e32 v49, v106, v77
	v_fma_f32 v55, v101, v71, -v44
	v_mul_f32_e32 v51, v45, v77
	ds_read2_b32 v[70:71], v132 offset0:10 offset1:59
	v_mul_f32_e32 v50, v102, v79
	v_mul_f32_e32 v47, v48, v79
	v_fmac_f32_e32 v49, v45, v76
	v_fma_f32 v51, v106, v76, -v51
	ds_read2_b32 v[76:77], v121 offset0:130 offset1:179
	v_fmac_f32_e32 v50, v48, v78
	v_fma_f32 v48, v102, v78, -v47
	s_waitcnt vmcnt(14)
	v_mul_f32_e32 v44, v107, v81
	v_mul_f32_e32 v47, v46, v81
	v_mul_f32_e32 v64, v115, v83
	s_waitcnt lgkmcnt(3)
	v_mul_f32_e32 v45, v14, v83
	ds_read2_b32 v[78:79], v135 offset0:152 offset1:201
	v_fmac_f32_e32 v44, v46, v80
	v_fma_f32 v46, v107, v80, -v47
	v_fma_f32 v47, v14, v82, -v64
	s_waitcnt vmcnt(13)
	v_mul_f32_e32 v101, v73, v87
	v_mul_f32_e32 v14, v43, v87
	s_waitcnt lgkmcnt(3)
	v_mul_f32_e32 v108, v63, v85
	s_waitcnt vmcnt(12)
	v_mul_f32_e32 v125, v62, v89
	v_mul_f32_e32 v64, v42, v85
	v_fmac_f32_e32 v101, v43, v86
	v_fma_f32 v109, v73, v86, -v14
	v_fmac_f32_e32 v108, v42, v84
	v_fmac_f32_e32 v125, v41, v88
	v_mul_f32_e32 v14, v41, v89
	ds_read2_b32 v[42:43], v105 offset0:122 offset1:171
	s_waitcnt lgkmcnt(3)
	v_mul_f32_e32 v126, v71, v91
	v_mul_f32_e32 v41, v39, v91
	v_fma_f32 v110, v63, v84, -v64
	v_mul_f32_e32 v64, v70, v91
	ds_read2_b32 v[72:73], v121 offset0:32 offset1:81
	v_fma_f32 v139, v62, v88, -v14
	v_fmac_f32_e32 v126, v40, v90
	v_mul_f32_e32 v14, v40, v91
	v_fma_f32 v70, v70, v90, -v41
	s_waitcnt lgkmcnt(3)
	v_mul_f32_e32 v69, v77, v89
	v_mul_f32_e32 v40, v36, v89
	s_waitcnt vmcnt(11)
	v_mul_f32_e32 v41, v35, v95
	v_fmac_f32_e32 v64, v39, v90
	v_mul_f32_e32 v39, v76, v95
	v_fma_f32 v141, v71, v90, -v14
	v_fmac_f32_e32 v69, v36, v88
	v_fma_f32 v71, v77, v88, -v40
	v_fma_f32 v36, v76, v94, -v41
	ds_read2_b32 v[76:77], v131 offset0:190 offset1:239
	v_fmac_f32_e32 v39, v35, v94
	s_waitcnt lgkmcnt(2)
	v_mul_f32_e32 v35, v43, v93
	v_mul_f32_e32 v14, v38, v93
	s_waitcnt vmcnt(10)
	v_mul_f32_e32 v40, v42, v97
	v_mul_f32_e32 v62, v37, v97
	s_waitcnt lgkmcnt(1)
	v_mul_f32_e32 v41, v73, v99
	v_fmac_f32_e32 v35, v38, v92
	v_fma_f32 v38, v43, v92, -v14
	v_fmac_f32_e32 v40, v37, v96
	v_fma_f32 v37, v42, v96, -v62
	v_mul_f32_e32 v14, v34, v99
	s_waitcnt vmcnt(9)
	v_mul_f32_e32 v42, v72, v114
	v_mul_f32_e32 v62, v33, v114
	;; [unrolled: 1-line block ×3, first 2 shown]
	ds_read2_b32 v[80:81], v135 offset0:54 offset1:103
	v_mul_f32_e32 v63, v32, v112
	v_fmac_f32_e32 v41, v34, v98
	v_fma_f32 v34, v73, v98, -v14
	v_fmac_f32_e32 v42, v33, v113
	v_fma_f32 v33, v72, v113, -v62
	;; [unrolled: 2-line block ×3, first 2 shown]
	s_waitcnt vmcnt(8)
	v_mul_f32_e32 v62, v78, v117
	v_mul_f32_e32 v14, v31, v117
	ds_read2_b32 v[73:74], v131 offset0:92 offset1:141
	s_waitcnt lgkmcnt(2)
	v_mul_f32_e32 v63, v77, v119
	v_mul_f32_e32 v72, v30, v119
	v_fmac_f32_e32 v45, v115, v82
	v_fmac_f32_e32 v62, v31, v116
	v_fma_f32 v31, v78, v116, -v14
	v_fmac_f32_e32 v63, v30, v118
	v_fma_f32 v30, v77, v118, -v72
	ds_read2_b32 v[77:78], v104 offset0:84 offset1:133
	ds_read2_b32 v[82:83], v130 offset0:76 offset1:125
	s_waitcnt vmcnt(7)
	v_mul_f32_e32 v124, v76, v146
	v_mul_f32_e32 v14, v29, v146
	s_waitcnt lgkmcnt(3)
	v_mul_f32_e32 v127, v81, v144
	ds_read2_b32 v[84:85], v136 offset0:114 offset1:163
	s_waitcnt vmcnt(0)
	v_mul_f32_e32 v91, v15, v173
	v_fmac_f32_e32 v124, v29, v145
	v_mul_f32_e32 v29, v28, v144
	v_mul_f32_e32 v144, v80, v149
	v_fma_f32 v138, v76, v145, -v14
	v_mul_f32_e32 v14, v27, v149
	s_waitcnt lgkmcnt(3)
	v_mul_f32_e32 v72, v73, v151
	v_mul_f32_e32 v145, v74, v151
	v_fmac_f32_e32 v144, v27, v148
	v_mul_f32_e32 v27, v25, v151
	v_fmac_f32_e32 v127, v28, v143
	v_mul_f32_e32 v28, v26, v151
	v_fma_f32 v146, v80, v148, -v14
	v_fmac_f32_e32 v72, v25, v150
	v_fmac_f32_e32 v145, v26, v150
	v_fma_f32 v73, v73, v150, -v27
	v_mul_f32_e32 v14, v24, v149
	s_waitcnt lgkmcnt(2)
	v_mul_f32_e32 v25, v77, v155
	v_mul_f32_e32 v27, v23, v155
	ds_read2_b32 v[79:80], v120 offset0:106 offset1:155
	s_waitcnt lgkmcnt(2)
	v_mul_f32_e32 v26, v83, v153
	v_fma_f32 v147, v74, v150, -v28
	v_mul_f32_e32 v74, v78, v149
	v_fma_f32 v76, v78, v148, -v14
	v_fmac_f32_e32 v25, v23, v154
	v_fma_f32 v23, v77, v154, -v27
	v_fmac_f32_e32 v26, v11, v152
	v_mul_f32_e32 v11, v11, v153
	v_mul_f32_e32 v28, v82, v157
	;; [unrolled: 1-line block ×3, first 2 shown]
	ds_read2_b32 v[77:78], v136 offset0:16 offset1:65
	v_fma_f32 v140, v81, v143, -v29
	v_fmac_f32_e32 v74, v24, v148
	v_fma_f32 v24, v83, v152, -v11
	v_fmac_f32_e32 v28, v10, v156
	v_fma_f32 v29, v82, v156, -v14
	ds_read2_b32 v[82:83], v133 offset0:136 offset1:185
	ds_read2_b32 v[10:11], v133 offset0:38 offset1:87
	ds_read2_b32 v[89:90], v130 offset0:174 offset1:223
	s_waitcnt lgkmcnt(5)
	v_mul_f32_e32 v27, v85, v159
	v_mul_f32_e32 v81, v22, v159
	;; [unrolled: 1-line block ×4, first 2 shown]
	s_waitcnt lgkmcnt(4)
	v_mul_f32_e32 v123, v80, v161
	v_fmac_f32_e32 v27, v22, v158
	v_fma_f32 v22, v85, v158, -v81
	v_mul_f32_e32 v81, v20, v161
	v_mul_f32_e32 v142, v79, v165
	v_fmac_f32_e32 v111, v21, v162
	v_fma_f32 v21, v84, v162, -v14
	v_fmac_f32_e32 v123, v20, v160
	v_fma_f32 v20, v80, v160, -v81
	v_fmac_f32_e32 v142, v19, v164
	v_mul_f32_e32 v14, v19, v165
	s_waitcnt lgkmcnt(3)
	v_mul_f32_e32 v19, v78, v167
	v_mul_f32_e32 v80, v18, v167
	;; [unrolled: 1-line block ×4, first 2 shown]
	v_fma_f32 v143, v79, v164, -v14
	v_fmac_f32_e32 v19, v18, v166
	v_fma_f32 v18, v78, v166, -v80
	v_fmac_f32_e32 v148, v17, v170
	v_fma_f32 v149, v77, v170, -v81
	s_waitcnt lgkmcnt(2)
	v_mul_f32_e32 v17, v83, v169
	s_waitcnt lgkmcnt(1)
	v_mul_f32_e32 v78, v11, v173
	;; [unrolled: 2-line block ×3, first 2 shown]
	v_mul_f32_e32 v14, v16, v169
	v_mul_f32_e32 v151, v82, v173
	v_fmac_f32_e32 v17, v16, v168
	v_fmac_f32_e32 v78, v1, v172
	;; [unrolled: 1-line block ×3, first 2 shown]
	v_mul_f32_e32 v16, v12, v175
	v_fma_f32 v150, v83, v168, -v14
	v_mul_f32_e32 v1, v1, v173
	v_add_f32_e32 v12, v78, v64
	v_add_f32_e32 v14, v77, v69
	v_fma_f32 v79, v89, v174, -v16
	v_fmac_f32_e32 v151, v15, v172
	v_add_f32_e32 v16, v74, v72
	v_fma_f32 v80, v11, v172, -v1
	v_add_f32_e32 v15, v14, v12
	v_sub_f32_e32 v11, v79, v71
	v_sub_f32_e32 v81, v73, v76
	;; [unrolled: 1-line block ×4, first 2 shown]
	v_add_f32_e32 v89, v16, v15
	v_sub_f32_e32 v15, v80, v70
	v_sub_f32_e32 v16, v81, v11
	v_add_f32_e32 v92, v81, v11
	v_mul_f32_e32 v88, 0x3f4a47b2, v86
	v_add_f32_e32 v83, v8, v89
	v_mul_f32_e32 v1, v90, v175
	v_mul_f32_e32 v87, 0x3f08b237, v16
	;; [unrolled: 1-line block ×3, first 2 shown]
	v_add_f32_e32 v86, v92, v15
	v_fmamk_f32 v89, v89, 0xbf955555, v83
	v_fmamk_f32 v92, v85, 0x3d64c772, v88
	v_sub_f32_e32 v84, v15, v81
	v_fma_f32 v153, v90, v174, -v16
	v_sub_f32_e32 v90, v11, v15
	v_fma_f32 v8, v82, v172, -v91
	v_add_f32_e32 v82, v92, v89
	v_sub_f32_e32 v91, v14, v12
	v_mul_f32_e32 v85, 0x3d64c772, v85
	v_mul_f32_e32 v92, 0xbf5ff5aa, v90
	v_fmamk_f32 v81, v84, 0xbeae86e6, v87
	v_fma_f32 v87, 0xbf5ff5aa, v90, -v87
	v_fma_f32 v88, 0xbf3bfb3b, v91, -v88
	;; [unrolled: 1-line block ×4, first 2 shown]
	v_fmac_f32_e32 v1, v13, v174
	v_fmac_f32_e32 v81, 0xbee1c552, v86
	v_add_f32_e32 v88, v88, v89
	v_add_f32_e32 v85, v85, v89
	v_fmac_f32_e32 v84, 0xbee1c552, v86
	v_fmac_f32_e32 v87, 0xbee1c552, v86
	v_add_f32_e32 v86, v81, v82
	v_add_f32_e32 v89, v151, v126
	;; [unrolled: 1-line block ×4, first 2 shown]
	v_sub_f32_e32 v92, v85, v87
	ds_read2_b32 v[15:16], v129 offset1:49
	ds_read2_b32 v[13:14], v129 offset0:98 offset1:147
	ds_read2_b32 v[11:12], v129 offset0:196 offset1:245
	s_waitcnt lgkmcnt(0)
	s_barrier
	buffer_gl0_inv
	v_add_f32_e32 v93, v144, v145
	v_add_f32_e32 v94, v90, v89
	ds_write2_b32 v129, v83, v86 offset1:49
	ds_write2_b32 v129, v91, v92 offset0:98 offset1:147
	v_add_f32_e32 v83, v87, v85
	v_sub_f32_e32 v84, v88, v84
	v_sub_f32_e32 v87, v153, v139
	v_sub_f32_e32 v88, v147, v146
	v_sub_f32_e32 v91, v8, v141
	v_add_f32_e32 v85, v93, v94
	v_sub_f32_e32 v86, v90, v89
	v_sub_f32_e32 v89, v89, v93
	;; [unrolled: 1-line block ×4, first 2 shown]
	v_add_f32_e32 v93, v88, v87
	v_sub_f32_e32 v87, v87, v91
	v_add_f32_e32 v9, v9, v85
	v_sub_f32_e32 v88, v91, v88
	v_mul_f32_e32 v89, 0x3f4a47b2, v89
	v_mul_f32_e32 v92, 0x3f08b237, v92
	v_add_f32_e32 v91, v93, v91
	v_mul_f32_e32 v93, 0xbf5ff5aa, v87
	v_fmamk_f32 v85, v85, 0xbf955555, v9
	v_fmamk_f32 v94, v90, 0x3d64c772, v89
	v_fmamk_f32 v95, v88, 0xbeae86e6, v92
	ds_write2_b32 v129, v83, v84 offset0:196 offset1:245
	v_fma_f32 v83, 0xbf3bfb3b, v86, -v89
	v_fma_f32 v84, 0x3eae86e6, v88, -v93
	v_mul_f32_e32 v89, 0x3d64c772, v90
	v_sub_f32_e32 v81, v82, v81
	v_fma_f32 v87, 0xbf5ff5aa, v87, -v92
	v_add_f32_e32 v90, v17, v101
	v_add_f32_e32 v92, v148, v108
	;; [unrolled: 1-line block ×3, first 2 shown]
	v_fmac_f32_e32 v95, 0xbee1c552, v91
	v_add_f32_e32 v83, v83, v85
	v_fmac_f32_e32 v84, 0xbee1c552, v91
	v_fma_f32 v86, 0x3f3bfb3b, v86, -v89
	ds_write2_b32 v133, v81, v9 offset0:38 offset1:87
	v_add_f32_e32 v9, v127, v124
	v_add_f32_e32 v81, v92, v90
	;; [unrolled: 1-line block ×5, first 2 shown]
	v_fmac_f32_e32 v87, 0xbee1c552, v91
	v_add_f32_e32 v81, v9, v81
	v_sub_f32_e32 v93, v90, v9
	ds_write2_b32 v133, v82, v89 offset0:136 offset1:185
	v_sub_f32_e32 v86, v149, v110
	v_sub_f32_e32 v82, v85, v87
	;; [unrolled: 1-line block ×5, first 2 shown]
	v_add_f32_e32 v97, v6, v81
	v_mul_f32_e32 v93, 0x3f4a47b2, v93
	v_add_f32_e32 v6, v87, v85
	v_sub_f32_e32 v94, v89, v86
	v_add_f32_e32 v96, v89, v86
	v_fmamk_f32 v81, v81, 0xbf955555, v97
	v_fmamk_f32 v87, v9, 0x3d64c772, v93
	ds_write2_b32 v120, v82, v6 offset0:106 offset1:155
	v_sub_f32_e32 v82, v83, v84
	v_sub_f32_e32 v83, v88, v95
	;; [unrolled: 1-line block ×4, first 2 shown]
	v_mul_f32_e32 v94, 0x3f08b237, v94
	v_add_f32_e32 v84, v87, v81
	v_lshl_add_u32 v6, v75, 2, 0
	v_sub_f32_e32 v75, v92, v90
	v_mul_f32_e32 v9, 0x3d64c772, v9
	ds_write2_b32 v130, v82, v83 offset0:76 offset1:125
	v_mul_f32_e32 v83, 0xbf5ff5aa, v86
	v_add_f32_e32 v87, v142, v57
	v_add_f32_e32 v88, v19, v56
	;; [unrolled: 1-line block ×3, first 2 shown]
	v_fmamk_f32 v96, v89, 0xbeae86e6, v94
	v_fma_f32 v9, 0x3f3bfb3b, v75, -v9
	v_fma_f32 v75, 0xbf3bfb3b, v75, -v93
	;; [unrolled: 1-line block ×3, first 2 shown]
	v_add_f32_e32 v89, v62, v63
	v_add_f32_e32 v90, v88, v87
	v_fmac_f32_e32 v96, 0xbee1c552, v85
	v_fma_f32 v86, 0xbf5ff5aa, v86, -v94
	v_add_f32_e32 v75, v75, v81
	v_add_f32_e32 v9, v9, v81
	;; [unrolled: 1-line block ×4, first 2 shown]
	v_add_nc_u32_e32 v158, 0x800, v6
	v_fmac_f32_e32 v83, 0xbee1c552, v85
	v_fmac_f32_e32 v86, 0xbee1c552, v85
	v_add_f32_e32 v92, v7, v81
	v_sub_f32_e32 v7, v87, v89
	ds_write2_b32 v158, v97, v82 offset0:174 offset1:223
	v_add_f32_e32 v82, v83, v75
	v_sub_f32_e32 v85, v18, v58
	v_sub_f32_e32 v90, v30, v31
	;; [unrolled: 1-line block ×5, first 2 shown]
	v_mul_f32_e32 v97, 0x3f4a47b2, v7
	v_add_nc_u32_e32 v7, 0xc00, v6
	v_sub_f32_e32 v94, v90, v85
	v_add_f32_e32 v95, v90, v85
	v_sub_f32_e32 v75, v75, v83
	v_sub_f32_e32 v85, v85, v93
	ds_write2_b32 v7, v82, v91 offset0:16 offset1:65
	v_add_f32_e32 v82, v86, v9
	v_lshl_add_u32 v9, v68, 2, 0
	v_sub_f32_e32 v68, v88, v87
	v_mul_f32_e32 v86, 0x3d64c772, v89
	v_sub_f32_e32 v90, v93, v90
	v_mul_f32_e32 v94, 0x3f08b237, v94
	v_fmamk_f32 v81, v81, 0xbf955555, v92
	v_fmamk_f32 v98, v89, 0x3d64c772, v97
	ds_write2_b32 v7, v82, v75 offset0:114 offset1:163
	v_mul_f32_e32 v82, 0xbf5ff5aa, v85
	v_fma_f32 v86, 0x3f3bfb3b, v68, -v86
	v_fma_f32 v68, 0xbf3bfb3b, v68, -v97
	v_add_f32_e32 v87, v123, v53
	v_add_f32_e32 v88, v111, v52
	v_fmamk_f32 v99, v90, 0xbeae86e6, v94
	v_add_f32_e32 v83, v98, v81
	v_fma_f32 v82, 0x3eae86e6, v90, -v82
	v_add_f32_e32 v86, v86, v81
	v_add_f32_e32 v89, v43, v42
	;; [unrolled: 1-line block ×4, first 2 shown]
	v_sub_f32_e32 v81, v21, v54
	v_sub_f32_e32 v91, v33, v32
	v_add_f32_e32 v95, v95, v93
	v_fma_f32 v85, 0xbf5ff5aa, v85, -v94
	v_add_f32_e32 v90, v89, v90
	v_sub_f32_e32 v93, v20, v55
	v_sub_f32_e32 v94, v87, v89
	;; [unrolled: 1-line block ×3, first 2 shown]
	v_fmac_f32_e32 v99, 0xbee1c552, v95
	v_sub_f32_e32 v89, v89, v88
	v_add_f32_e32 v98, v91, v81
	v_sub_f32_e32 v91, v93, v91
	v_add_f32_e32 v102, v2, v90
	v_mul_f32_e32 v94, 0x3f4a47b2, v94
	v_mul_f32_e32 v97, 0x3f08b237, v97
	v_add_f32_e32 v75, v99, v83
	v_add_nc_u32_e32 v154, 0x1000, v9
	v_fmac_f32_e32 v82, 0xbee1c552, v95
	v_fmac_f32_e32 v85, 0xbee1c552, v95
	v_add_f32_e32 v95, v98, v93
	v_fmamk_f32 v90, v90, 0xbf955555, v102
	v_fmamk_f32 v2, v89, 0x3d64c772, v94
	v_fmamk_f32 v98, v91, 0xbeae86e6, v97
	ds_write2_b32 v154, v92, v75 offset0:5 offset1:54
	v_add_f32_e32 v75, v82, v68
	v_sub_f32_e32 v92, v86, v85
	v_add_f32_e32 v103, v2, v90
	v_fmac_f32_e32 v98, 0xbee1c552, v95
	v_lshl_add_u32 v2, v67, 2, 0
	v_add_f32_e32 v67, v85, v86
	v_sub_f32_e32 v68, v68, v82
	ds_write2_b32 v154, v75, v92 offset0:103 offset1:152
	v_add_f32_e32 v75, v98, v103
	v_add_nc_u32_e32 v155, 0x1400, v2
	v_sub_f32_e32 v81, v81, v93
	v_add_f32_e32 v82, v28, v50
	v_add_f32_e32 v85, v27, v49
	ds_write2_b32 v154, v67, v68 offset0:201 offset1:250
	v_sub_f32_e32 v67, v88, v87
	v_mul_f32_e32 v68, 0x3d64c772, v89
	ds_write2_b32 v155, v102, v75 offset0:92 offset1:141
	v_mul_f32_e32 v75, 0xbf5ff5aa, v81
	v_add_f32_e32 v86, v40, v41
	v_add_f32_e32 v87, v85, v82
	v_fma_f32 v68, 0x3f3bfb3b, v67, -v68
	v_fma_f32 v67, 0xbf3bfb3b, v67, -v94
	v_fma_f32 v75, 0x3eae86e6, v91, -v75
	v_fma_f32 v81, 0xbf5ff5aa, v81, -v97
	v_add_f32_e32 v87, v86, v87
	v_sub_f32_e32 v88, v22, v51
	v_sub_f32_e32 v89, v34, v37
	v_add_f32_e32 v68, v68, v90
	v_add_f32_e32 v67, v67, v90
	v_fmac_f32_e32 v75, 0xbee1c552, v95
	v_fmac_f32_e32 v81, 0xbee1c552, v95
	v_add_f32_e32 v91, v3, v87
	v_sub_f32_e32 v3, v82, v86
	v_sub_f32_e32 v92, v29, v48
	;; [unrolled: 1-line block ×3, first 2 shown]
	v_add_f32_e32 v90, v75, v67
	v_sub_f32_e32 v86, v86, v85
	v_mul_f32_e32 v95, 0x3f4a47b2, v3
	v_sub_f32_e32 v3, v68, v81
	v_add_f32_e32 v68, v81, v68
	v_sub_f32_e32 v81, v88, v92
	v_add_f32_e32 v94, v89, v88
	v_sub_f32_e32 v89, v92, v89
	v_mul_f32_e32 v93, 0x3f08b237, v93
	ds_write2_b32 v155, v90, v3 offset0:190 offset1:239
	v_lshl_add_u32 v3, v66, 2, 0
	v_sub_f32_e32 v66, v85, v82
	v_mul_f32_e32 v82, 0x3d64c772, v86
	v_mul_f32_e32 v85, 0xbf5ff5aa, v81
	v_add_f32_e32 v94, v94, v92
	v_fmamk_f32 v87, v87, 0xbf955555, v91
	v_fmamk_f32 v97, v86, 0x3d64c772, v95
	;; [unrolled: 1-line block ×3, first 2 shown]
	v_fma_f32 v82, 0x3f3bfb3b, v66, -v82
	v_fma_f32 v66, 0xbf3bfb3b, v66, -v95
	;; [unrolled: 1-line block ×3, first 2 shown]
	v_add_f32_e32 v88, v26, v45
	v_add_f32_e32 v89, v25, v44
	v_sub_f32_e32 v67, v67, v75
	v_add_f32_e32 v75, v97, v87
	v_fmac_f32_e32 v102, 0xbee1c552, v94
	v_add_nc_u32_e32 v156, 0x1800, v2
	v_add_f32_e32 v82, v82, v87
	v_add_f32_e32 v66, v66, v87
	;; [unrolled: 1-line block ×5, first 2 shown]
	v_add_nc_u32_e32 v157, 0x1800, v3
	ds_write2_b32 v156, v68, v67 offset0:32 offset1:81
	ds_write2_b32 v157, v91, v86 offset0:179 offset1:228
	v_add_f32_e32 v68, v87, v90
	v_fma_f32 v81, 0xbf5ff5aa, v81, -v93
	v_sub_f32_e32 v90, v23, v46
	v_sub_f32_e32 v91, v36, v38
	;; [unrolled: 1-line block ×3, first 2 shown]
	v_add_f32_e32 v92, v0, v68
	v_sub_f32_e32 v0, v88, v87
	v_fmac_f32_e32 v85, 0xbee1c552, v94
	v_fmac_f32_e32 v81, 0xbee1c552, v94
	v_sub_f32_e32 v94, v91, v90
	v_add_f32_e32 v95, v91, v90
	v_sub_f32_e32 v87, v87, v89
	v_mul_f32_e32 v0, 0x3f4a47b2, v0
	v_sub_f32_e32 v90, v90, v93
	v_sub_f32_e32 v91, v93, v91
	v_mul_f32_e32 v94, 0x3f08b237, v94
	v_sub_f32_e32 v86, v82, v81
	v_fmamk_f32 v97, v87, 0x3d64c772, v0
	v_sub_f32_e32 v88, v89, v88
	v_mul_f32_e32 v87, 0x3d64c772, v87
	v_add_f32_e32 v81, v81, v82
	v_mul_f32_e32 v82, 0xbf5ff5aa, v90
	v_add_f32_e32 v95, v95, v93
	v_fmamk_f32 v68, v68, 0xbf955555, v92
	v_fmamk_f32 v93, v91, 0xbeae86e6, v94
	v_fma_f32 v87, 0x3f3bfb3b, v88, -v87
	v_fma_f32 v88, 0xbf3bfb3b, v88, -v0
	;; [unrolled: 1-line block ×4, first 2 shown]
	v_add_f32_e32 v89, v97, v68
	v_fmac_f32_e32 v93, 0xbee1c552, v95
	v_lshl_add_u32 v0, v65, 2, 0
	v_add_f32_e32 v65, v87, v68
	v_add_f32_e32 v68, v88, v68
	v_fmac_f32_e32 v82, 0xbee1c552, v95
	v_fmac_f32_e32 v90, 0xbee1c552, v95
	v_add_f32_e32 v67, v85, v66
	v_add_nc_u32_e32 v159, 0x1c00, v3
	v_add_f32_e32 v114, v80, v70
	v_add_f32_e32 v115, v79, v71
	v_sub_f32_e32 v66, v66, v85
	v_add_f32_e32 v85, v93, v89
	v_add_nc_u32_e32 v160, 0x2000, v0
	v_add_f32_e32 v87, v82, v68
	v_sub_f32_e32 v88, v65, v90
	v_add_f32_e32 v65, v90, v65
	v_sub_f32_e32 v68, v68, v82
	ds_write2_b32 v159, v67, v86 offset0:21 offset1:70
	ds_write2_b32 v159, v81, v66 offset0:119 offset1:168
	;; [unrolled: 1-line block ×5, first 2 shown]
	v_sub_f32_e32 v112, v78, v64
	v_sub_f32_e32 v113, v77, v69
	v_add_f32_e32 v64, v76, v73
	v_sub_f32_e32 v65, v72, v74
	v_sub_f32_e32 v66, v84, v96
	v_add_f32_e32 v68, v115, v114
	;; [unrolled: 3-line block ×3, first 2 shown]
	ds_write_b32 v6, v66 offset:3920
	v_add_f32_e32 v66, v64, v68
	v_sub_f32_e32 v68, v114, v64
	v_sub_f32_e32 v64, v65, v113
	;; [unrolled: 1-line block ×4, first 2 shown]
	v_add_f32_e32 v15, v15, v66
	v_mul_f32_e32 v162, 0x3f4a47b2, v68
	v_mul_f32_e32 v163, 0x3f08b237, v64
	;; [unrolled: 1-line block ×4, first 2 shown]
	v_add_f32_e32 v164, v72, v112
	v_fmamk_f32 v165, v66, 0xbf955555, v15
	v_fmamk_f32 v64, v116, 0x3d64c772, v162
	v_fmamk_f32 v166, v161, 0xbeae86e6, v163
	v_fma_f32 v170, 0x3f3bfb3b, v169, -v170
	v_fma_f32 v162, 0xbf3bfb3b, v169, -v162
	;; [unrolled: 1-line block ×4, first 2 shown]
	v_add_f32_e32 v167, v64, v165
	v_fmac_f32_e32 v166, 0xbee1c552, v164
	v_add_f32_e32 v168, v170, v165
	v_add_f32_e32 v162, v162, v165
	v_fmac_f32_e32 v161, 0xbee1c552, v164
	v_fmac_f32_e32 v163, 0xbee1c552, v164
	v_sub_f32_e32 v67, v83, v99
	v_sub_f32_e32 v69, v103, v98
	;; [unrolled: 1-line block ×3, first 2 shown]
	v_add_f32_e32 v8, v8, v141
	v_add_f32_e32 v139, v153, v139
	v_sub_f32_e32 v70, v75, v102
	v_sub_f32_e32 v165, v162, v161
	v_add_f32_e32 v169, v163, v168
	v_sub_f32_e32 v71, v89, v93
	v_sub_f32_e32 v163, v168, v163
	v_add_f32_e32 v161, v161, v162
	ds_write_b32 v9, v67 offset:5292
	ds_write_b32 v2, v69 offset:6664
	;; [unrolled: 1-line block ×4, first 2 shown]
	s_waitcnt lgkmcnt(0)
	s_barrier
	buffer_gl0_inv
	ds_read_b32 v152, v129 offset:9408
	ds_read2_b32 v[64:65], v129 offset1:49
	ds_read2_b32 v[74:75], v133 offset0:38 offset1:87
	ds_read2_b32 v[70:71], v130 offset0:174 offset1:223
	;; [unrolled: 1-line block ×23, first 2 shown]
	s_waitcnt lgkmcnt(0)
	s_barrier
	buffer_gl0_inv
	ds_write2_b32 v129, v15, v164 offset1:49
	ds_write2_b32 v129, v165, v169 offset0:98 offset1:147
	ds_write2_b32 v129, v163, v161 offset0:196 offset1:245
	v_add_f32_e32 v15, v146, v147
	v_add_f32_e32 v141, v139, v8
	v_sub_f32_e32 v1, v1, v125
	v_sub_f32_e32 v125, v145, v144
	v_sub_f32_e32 v126, v151, v126
	v_sub_f32_e32 v144, v139, v8
	v_add_f32_e32 v141, v15, v141
	v_sub_f32_e32 v8, v8, v15
	v_sub_f32_e32 v15, v15, v139
	v_add_f32_e32 v139, v125, v1
	v_sub_f32_e32 v145, v125, v1
	v_add_f32_e32 v146, v166, v167
	v_add_f32_e32 v16, v16, v141
	v_sub_f32_e32 v1, v1, v126
	v_sub_f32_e32 v125, v126, v125
	v_add_f32_e32 v126, v139, v126
	v_mul_f32_e32 v8, 0x3f4a47b2, v8
	v_mul_f32_e32 v139, 0x3d64c772, v15
	;; [unrolled: 1-line block ×3, first 2 shown]
	ds_write2_b32 v133, v146, v16 offset0:38 offset1:87
	v_fmamk_f32 v16, v141, 0xbf955555, v16
	v_mul_f32_e32 v141, 0xbf5ff5aa, v1
	v_fmamk_f32 v15, v15, 0x3d64c772, v8
	v_fma_f32 v8, 0xbf3bfb3b, v144, -v8
	v_fma_f32 v139, 0x3f3bfb3b, v144, -v139
	;; [unrolled: 1-line block ×4, first 2 shown]
	v_fmamk_f32 v125, v125, 0xbeae86e6, v145
	v_add_f32_e32 v109, v150, v109
	v_add_f32_e32 v110, v149, v110
	;; [unrolled: 1-line block ×5, first 2 shown]
	v_fmac_f32_e32 v1, 0xbee1c552, v126
	v_sub_f32_e32 v108, v148, v108
	v_sub_f32_e32 v124, v124, v127
	v_fmac_f32_e32 v125, 0xbee1c552, v126
	v_fmac_f32_e32 v141, 0xbee1c552, v126
	v_add_f32_e32 v126, v140, v138
	v_add_f32_e32 v138, v110, v109
	;; [unrolled: 1-line block ×3, first 2 shown]
	v_sub_f32_e32 v1, v16, v1
	v_sub_f32_e32 v16, v17, v101
	v_add_f32_e32 v101, v124, v108
	v_add_f32_e32 v17, v126, v138
	v_sub_f32_e32 v138, v109, v126
	v_sub_f32_e32 v126, v126, v110
	;; [unrolled: 1-line block ×4, first 2 shown]
	v_add_f32_e32 v101, v101, v16
	v_sub_f32_e32 v16, v108, v16
	v_mul_f32_e32 v138, 0x3f4a47b2, v138
	v_add_f32_e32 v13, v13, v17
	v_sub_f32_e32 v108, v110, v109
	v_mul_f32_e32 v109, 0x3d64c772, v126
	v_mul_f32_e32 v110, 0x3f08b237, v139
	;; [unrolled: 1-line block ×3, first 2 shown]
	v_fmamk_f32 v17, v17, 0xbf955555, v13
	v_fmamk_f32 v126, v126, 0x3d64c772, v138
	v_fma_f32 v109, 0x3f3bfb3b, v108, -v109
	v_fma_f32 v108, 0xbf3bfb3b, v108, -v138
	v_fmamk_f32 v138, v124, 0xbeae86e6, v110
	v_fma_f32 v124, 0x3eae86e6, v124, -v139
	v_fma_f32 v16, 0xbf5ff5aa, v16, -v110
	v_add_f32_e32 v126, v126, v17
	v_add_f32_e32 v109, v109, v17
	v_fmac_f32_e32 v138, 0xbee1c552, v101
	v_add_f32_e32 v17, v108, v17
	v_fmac_f32_e32 v124, 0xbee1c552, v101
	v_fmac_f32_e32 v16, 0xbee1c552, v101
	v_sub_f32_e32 v139, v15, v125
	v_sub_f32_e32 v110, v8, v141
	v_add_f32_e32 v8, v141, v8
	v_add_f32_e32 v15, v125, v15
	v_sub_f32_e32 v101, v126, v138
	v_sub_f32_e32 v108, v17, v124
	v_add_f32_e32 v125, v16, v109
	ds_write2_b32 v133, v139, v110 offset0:136 offset1:185
	ds_write2_b32 v120, v127, v1 offset0:106 offset1:155
	;; [unrolled: 1-line block ×5, first 2 shown]
	v_add_f32_e32 v13, v143, v59
	v_add_f32_e32 v15, v18, v58
	;; [unrolled: 1-line block ×3, first 2 shown]
	v_sub_f32_e32 v17, v142, v57
	v_add_f32_e32 v18, v31, v30
	v_sub_f32_e32 v19, v19, v56
	v_add_f32_e32 v30, v15, v13
	v_sub_f32_e32 v31, v63, v62
	v_sub_f32_e32 v56, v15, v13
	;; [unrolled: 1-line block ×4, first 2 shown]
	v_add_f32_e32 v18, v18, v30
	v_add_f32_e32 v30, v31, v19
	v_sub_f32_e32 v57, v31, v19
	v_sub_f32_e32 v19, v19, v17
	;; [unrolled: 1-line block ×3, first 2 shown]
	v_mul_f32_e32 v13, 0x3f4a47b2, v13
	v_add_f32_e32 v17, v30, v17
	v_mul_f32_e32 v30, 0x3d64c772, v15
	v_add_f32_e32 v14, v14, v18
	v_mul_f32_e32 v57, 0x3f08b237, v57
	v_mul_f32_e32 v58, 0xbf5ff5aa, v19
	v_fmamk_f32 v15, v15, 0x3d64c772, v13
	v_fma_f32 v30, 0x3f3bfb3b, v56, -v30
	v_fmamk_f32 v18, v18, 0xbf955555, v14
	v_fma_f32 v19, 0xbf5ff5aa, v19, -v57
	v_fma_f32 v13, 0xbf3bfb3b, v56, -v13
	;; [unrolled: 1-line block ×3, first 2 shown]
	v_fmamk_f32 v31, v31, 0xbeae86e6, v57
	v_add_f32_e32 v30, v30, v18
	v_fmac_f32_e32 v19, 0xbee1c552, v17
	v_add_f32_e32 v15, v15, v18
	v_add_f32_e32 v20, v20, v55
	v_fmac_f32_e32 v31, 0xbee1c552, v17
	v_add_f32_e32 v21, v21, v54
	;; [unrolled: 3-line block ×3, first 2 shown]
	v_sub_f32_e32 v18, v30, v19
	v_sub_f32_e32 v30, v15, v31
	v_add_f32_e32 v15, v31, v15
	v_sub_f32_e32 v31, v123, v53
	v_add_f32_e32 v32, v32, v33
	;; [unrolled: 2-line block ×3, first 2 shown]
	v_sub_f32_e32 v42, v42, v43
	v_sub_f32_e32 v43, v21, v20
	;; [unrolled: 1-line block ×4, first 2 shown]
	v_add_f32_e32 v32, v32, v52
	v_add_f32_e32 v52, v42, v33
	v_sub_f32_e32 v53, v42, v33
	v_sub_f32_e32 v33, v33, v31
	;; [unrolled: 1-line block ×3, first 2 shown]
	v_mul_f32_e32 v20, 0x3f4a47b2, v20
	v_add_f32_e32 v31, v52, v31
	v_mul_f32_e32 v52, 0x3d64c772, v21
	v_add_f32_e32 v11, v11, v32
	v_mul_f32_e32 v53, 0x3f08b237, v53
	v_mul_f32_e32 v54, 0xbf5ff5aa, v33
	v_fmamk_f32 v21, v21, 0x3d64c772, v20
	v_fma_f32 v52, 0x3f3bfb3b, v43, -v52
	v_fmamk_f32 v32, v32, 0xbf955555, v11
	v_fma_f32 v33, 0xbf5ff5aa, v33, -v53
	v_fma_f32 v20, 0xbf3bfb3b, v43, -v20
	;; [unrolled: 1-line block ×3, first 2 shown]
	v_fmamk_f32 v42, v42, 0xbeae86e6, v53
	v_add_f32_e32 v29, v29, v48
	v_add_f32_e32 v22, v22, v51
	;; [unrolled: 1-line block ×3, first 2 shown]
	v_fmac_f32_e32 v33, 0xbee1c552, v31
	v_add_f32_e32 v20, v20, v32
	v_fmac_f32_e32 v43, 0xbee1c552, v31
	v_add_f32_e32 v21, v21, v32
	v_fmac_f32_e32 v42, 0xbee1c552, v31
	v_sub_f32_e32 v28, v28, v50
	v_add_f32_e32 v34, v37, v34
	v_sub_f32_e32 v27, v27, v49
	v_add_f32_e32 v37, v22, v29
	;; [unrolled: 2-line block ×3, first 2 shown]
	v_sub_f32_e32 v32, v52, v33
	v_sub_f32_e32 v33, v20, v43
	v_add_f32_e32 v20, v43, v20
	v_sub_f32_e32 v43, v21, v42
	v_add_f32_e32 v21, v42, v21
	v_sub_f32_e32 v41, v22, v29
	v_sub_f32_e32 v29, v29, v34
	;; [unrolled: 1-line block ×3, first 2 shown]
	v_add_f32_e32 v34, v34, v37
	v_add_f32_e32 v37, v40, v27
	v_sub_f32_e32 v42, v40, v27
	v_sub_f32_e32 v27, v27, v28
	;; [unrolled: 1-line block ×3, first 2 shown]
	v_mul_f32_e32 v29, 0x3f4a47b2, v29
	v_add_f32_e32 v28, v37, v28
	v_mul_f32_e32 v37, 0x3d64c772, v22
	v_add_f32_e32 v12, v12, v34
	v_mul_f32_e32 v42, 0x3f08b237, v42
	v_mul_f32_e32 v48, 0xbf5ff5aa, v27
	v_fmamk_f32 v22, v22, 0x3d64c772, v29
	v_fma_f32 v37, 0x3f3bfb3b, v41, -v37
	v_fmamk_f32 v34, v34, 0xbf955555, v12
	v_fma_f32 v27, 0xbf5ff5aa, v27, -v42
	v_fma_f32 v29, 0xbf3bfb3b, v41, -v29
	;; [unrolled: 1-line block ×3, first 2 shown]
	v_fmamk_f32 v40, v40, 0xbeae86e6, v42
	v_add_f32_e32 v24, v24, v47
	v_add_f32_e32 v23, v23, v46
	;; [unrolled: 1-line block ×3, first 2 shown]
	v_fmac_f32_e32 v27, 0xbee1c552, v28
	v_add_f32_e32 v22, v22, v34
	v_fmac_f32_e32 v40, 0xbee1c552, v28
	v_sub_f32_e32 v26, v26, v45
	v_add_f32_e32 v36, v38, v36
	v_sub_f32_e32 v25, v25, v44
	v_add_f32_e32 v38, v23, v24
	v_sub_f32_e32 v35, v39, v35
	v_add_f32_e32 v29, v29, v34
	v_fmac_f32_e32 v41, 0xbee1c552, v28
	v_add_f32_e32 v28, v27, v37
	v_sub_f32_e32 v27, v37, v27
	v_sub_f32_e32 v37, v22, v40
	v_add_f32_e32 v22, v40, v22
	v_sub_f32_e32 v39, v23, v24
	v_sub_f32_e32 v24, v24, v36
	;; [unrolled: 1-line block ×3, first 2 shown]
	v_add_f32_e32 v36, v36, v38
	v_add_f32_e32 v38, v35, v25
	v_sub_f32_e32 v40, v35, v25
	v_sub_f32_e32 v25, v25, v26
	;; [unrolled: 1-line block ×3, first 2 shown]
	v_add_f32_e32 v29, v41, v29
	v_sub_f32_e32 v35, v26, v35
	v_mul_f32_e32 v24, 0x3f4a47b2, v24
	v_add_f32_e32 v26, v38, v26
	v_mul_f32_e32 v38, 0x3d64c772, v23
	v_add_f32_e32 v10, v10, v36
	v_mul_f32_e32 v40, 0x3f08b237, v40
	v_mul_f32_e32 v41, 0xbf5ff5aa, v25
	v_fmamk_f32 v23, v23, 0x3d64c772, v24
	v_fma_f32 v38, 0x3f3bfb3b, v39, -v38
	v_fmamk_f32 v36, v36, 0xbf955555, v10
	v_fma_f32 v25, 0xbf5ff5aa, v25, -v40
	v_fma_f32 v24, 0xbf3bfb3b, v39, -v24
	;; [unrolled: 1-line block ×3, first 2 shown]
	v_fmamk_f32 v35, v35, 0xbeae86e6, v40
	v_sub_f32_e32 v1, v109, v16
	v_add_f32_e32 v38, v38, v36
	v_fmac_f32_e32 v25, 0xbee1c552, v26
	v_add_f32_e32 v24, v24, v36
	v_fmac_f32_e32 v39, 0xbee1c552, v26
	;; [unrolled: 2-line block ×3, first 2 shown]
	v_add_f32_e32 v16, v138, v126
	v_sub_f32_e32 v19, v13, v56
	v_add_f32_e32 v13, v56, v13
	v_add_f32_e32 v26, v25, v38
	v_sub_f32_e32 v25, v38, v25
	v_sub_f32_e32 v36, v24, v39
	v_add_f32_e32 v24, v39, v24
	v_sub_f32_e32 v38, v23, v35
	v_add_f32_e32 v23, v35, v23
	ds_write2_b32 v7, v1, v8 offset0:114 offset1:163
	ds_write_b32 v6, v16 offset:3920
	ds_write2_b32 v154, v14, v30 offset0:5 offset1:54
	ds_write2_b32 v154, v19, v17 offset0:103 offset1:152
	ds_write2_b32 v154, v18, v13 offset0:201 offset1:250
	ds_write_b32 v9, v15 offset:5292
	ds_write2_b32 v155, v11, v43 offset0:92 offset1:141
	ds_write2_b32 v155, v33, v31 offset0:190 offset1:239
	;; [unrolled: 4-line block ×4, first 2 shown]
	ds_write2_b32 v160, v25, v24 offset0:206 offset1:255
	ds_write_b32 v0, v23 offset:9408
	s_waitcnt lgkmcnt(0)
	s_barrier
	buffer_gl0_inv
	s_and_saveexec_b32 s2, vcc_lo
	s_cbranch_execz .LBB0_15
; %bb.14:
	v_mul_u32_u24_e32 v0, 6, v137
	v_mov_b32_e32 v63, 0
	v_mad_u32_u24 v62, v137, 6, 0xfffffeda
	v_lshlrev_b64 v[60:61], 3, v[60:61]
	v_lshlrev_b32_e32 v0, 3, v0
	v_add_co_u32 v6, s2, s12, v0
	v_add_co_ci_u32_e64 v7, null, s13, 0, s2
	v_lshlrev_b64 v[0:1], 3, v[62:63]
	v_add_co_u32 v2, vcc_lo, 0x800, v6
	v_add_co_ci_u32_e32 v3, vcc_lo, 0, v7, vcc_lo
	v_add_co_u32 v6, vcc_lo, 0xa80, v6
	v_add_co_ci_u32_e32 v7, vcc_lo, 0, v7, vcc_lo
	global_load_dwordx4 v[12:15], v[2:3], off offset:640
	v_add_co_u32 v2, vcc_lo, s12, v0
	v_add_co_ci_u32_e32 v3, vcc_lo, s13, v1, vcc_lo
	v_mad_u32_u24 v62, v137, 6, 0xfffffdb4
	v_add_co_u32 v0, vcc_lo, 0x800, v2
	v_add_co_ci_u32_e32 v1, vcc_lo, 0, v3, vcc_lo
	v_add_co_u32 v2, vcc_lo, 0xa80, v2
	v_add_co_ci_u32_e32 v3, vcc_lo, 0, v3, vcc_lo
	s_clause 0x4
	global_load_dwordx4 v[20:23], v[6:7], off offset:32
	global_load_dwordx4 v[28:31], v[6:7], off offset:16
	;; [unrolled: 1-line block ×5, first 2 shown]
	v_lshlrev_b64 v[0:1], 3, v[62:63]
	v_mad_u32_u24 v62, v137, 6, 0xfffffc8e
	v_add_co_u32 v138, s2, s12, v100
	v_mad_u64_u32 v[100:101], null, s0, v4, 0
	v_add_co_u32 v2, vcc_lo, s12, v0
	v_add_co_ci_u32_e32 v3, vcc_lo, s13, v1, vcc_lo
	v_add_co_ci_u32_e64 v139, null, s13, 0, s2
	v_add_co_u32 v0, vcc_lo, 0x800, v2
	v_add_co_ci_u32_e32 v1, vcc_lo, 0, v3, vcc_lo
	v_add_co_u32 v2, vcc_lo, 0xa80, v2
	v_add_co_ci_u32_e32 v3, vcc_lo, 0, v3, vcc_lo
	s_clause 0x2
	global_load_dwordx4 v[48:51], v[0:1], off offset:640
	global_load_dwordx4 v[52:55], v[2:3], off offset:32
	;; [unrolled: 1-line block ×3, first 2 shown]
	v_lshlrev_b64 v[0:1], 3, v[62:63]
	v_mul_lo_u32 v2, s1, v4
	v_mul_lo_u32 v3, s0, v5
	ds_read2_b32 v[153:154], v130 offset0:76 offset1:125
	ds_read_b32 v165, v129 offset:9408
	ds_read2_b32 v[108:109], v121 offset0:130 offset1:179
	ds_read2_b32 v[155:156], v105 offset0:122 offset1:171
	;; [unrolled: 1-line block ×12, first 2 shown]
	v_add_co_u32 v6, vcc_lo, s12, v0
	v_add_co_ci_u32_e32 v7, vcc_lo, s13, v1, vcc_lo
	v_mad_u32_u24 v62, v137, 6, 0xfffffb68
	v_add_co_u32 v4, vcc_lo, 0xa80, v6
	v_add_co_ci_u32_e32 v5, vcc_lo, 0, v7, vcc_lo
	v_add_co_u32 v6, vcc_lo, 0x800, v6
	v_add_co_ci_u32_e32 v7, vcc_lo, 0, v7, vcc_lo
	s_clause 0x2
	global_load_dwordx4 v[140:143], v[6:7], off offset:640
	global_load_dwordx4 v[144:147], v[4:5], off offset:32
	;; [unrolled: 1-line block ×3, first 2 shown]
	v_add3_u32 v101, v101, v3, v2
	v_lshlrev_b64 v[2:3], 3, v[62:63]
	v_mad_u32_u24 v62, v137, 6, 0xfffffa42
	v_lshlrev_b64 v[0:1], 3, v[62:63]
	v_add_co_u32 v8, vcc_lo, s12, v2
	v_add_co_ci_u32_e32 v9, vcc_lo, s13, v3, vcc_lo
	v_add_co_u32 v4, vcc_lo, s12, v0
	v_add_co_ci_u32_e32 v5, vcc_lo, s13, v1, vcc_lo
	;; [unrolled: 2-line block ×6, first 2 shown]
	s_clause 0x5
	global_load_dwordx4 v[40:43], v[0:1], off offset:32
	global_load_dwordx4 v[36:39], v[0:1], off offset:16
	;; [unrolled: 1-line block ×6, first 2 shown]
	s_waitcnt vmcnt(17) lgkmcnt(13)
	v_mul_f32_e32 v62, v13, v154
	s_waitcnt lgkmcnt(9)
	v_mul_f32_e32 v168, v15, v104
	v_mul_f32_e32 v13, v115, v13
	;; [unrolled: 1-line block ×3, first 2 shown]
	v_fmac_f32_e32 v62, v115, v12
	v_fmac_f32_e32 v168, v66, v14
	v_fma_f32 v12, v12, v154, -v13
	v_fma_f32 v14, v14, v104, -v15
	s_waitcnt vmcnt(16)
	v_mul_f32_e32 v137, v23, v165
	s_waitcnt vmcnt(15)
	v_mul_f32_e32 v166, v31, v108
	v_mul_f32_e32 v167, v29, v156
	s_waitcnt lgkmcnt(8)
	v_mul_f32_e32 v169, v21, v158
	v_mul_f32_e32 v23, v152, v23
	;; [unrolled: 1-line block ×5, first 2 shown]
	s_waitcnt vmcnt(14)
	v_mul_f32_e32 v170, v17, v153
	s_waitcnt vmcnt(13) lgkmcnt(6)
	v_mul_f32_e32 v171, v27, v160
	s_waitcnt vmcnt(12) lgkmcnt(5)
	v_mul_f32_e32 v172, v35, v162
	v_mul_f32_e32 v173, v33, v155
	s_waitcnt lgkmcnt(4)
	v_mul_f32_e32 v174, v19, v164
	v_mul_f32_e32 v175, v25, v157
	;; [unrolled: 1-line block ×8, first 2 shown]
	v_fmac_f32_e32 v137, v152, v22
	v_fmac_f32_e32 v166, v72, v30
	;; [unrolled: 1-line block ×4, first 2 shown]
	v_fma_f32 v22, v22, v165, -v23
	v_fma_f32 v13, v28, v156, -v29
	;; [unrolled: 1-line block ×4, first 2 shown]
	v_fmac_f32_e32 v170, v114, v16
	v_fmac_f32_e32 v171, v113, v26
	;; [unrolled: 1-line block ×6, first 2 shown]
	v_fma_f32 v15, v26, v160, -v27
	v_fma_f32 v16, v16, v153, -v17
	;; [unrolled: 1-line block ×6, first 2 shown]
	s_waitcnt vmcnt(11) lgkmcnt(2)
	v_mul_f32_e32 v19, v49, v125
	s_waitcnt vmcnt(10)
	v_mul_f32_e32 v25, v55, v159
	s_waitcnt vmcnt(9)
	v_mul_f32_e32 v26, v59, v161
	s_waitcnt lgkmcnt(1)
	v_mul_f32_e32 v27, v57, v121
	v_mul_f32_e32 v28, v51, v163
	s_waitcnt lgkmcnt(0)
	v_mul_f32_e32 v29, v53, v123
	v_mul_f32_e32 v30, v112, v55
	;; [unrolled: 1-line block ×7, first 2 shown]
	v_sub_f32_e32 v49, v62, v137
	v_sub_f32_e32 v51, v166, v167
	;; [unrolled: 1-line block ×3, first 2 shown]
	v_add_f32_e32 v55, v12, v22
	v_add_f32_e32 v57, v23, v13
	;; [unrolled: 1-line block ×6, first 2 shown]
	v_sub_f32_e32 v12, v12, v22
	v_sub_f32_e32 v13, v23, v13
	;; [unrolled: 1-line block ×5, first 2 shown]
	v_add_f32_e32 v103, v16, v15
	v_add_f32_e32 v107, v18, v24
	;; [unrolled: 1-line block ×4, first 2 shown]
	v_sub_f32_e32 v20, v170, v171
	v_add_f32_e32 v104, v21, v17
	v_add_f32_e32 v113, v172, v173
	v_sub_f32_e32 v15, v16, v15
	v_sub_f32_e32 v16, v21, v17
	;; [unrolled: 1-line block ×3, first 2 shown]
	v_fmac_f32_e32 v19, v97, v48
	v_fmac_f32_e32 v25, v112, v54
	;; [unrolled: 1-line block ×6, first 2 shown]
	v_fma_f32 v93, v54, v159, -v30
	v_fma_f32 v95, v48, v125, -v31
	;; [unrolled: 1-line block ×6, first 2 shown]
	v_sub_f32_e32 v18, v49, v51
	v_sub_f32_e32 v21, v51, v53
	v_add_f32_e32 v24, v51, v53
	v_sub_f32_e32 v30, v55, v57
	v_sub_f32_e32 v31, v57, v59
	v_add_f32_e32 v32, v55, v59
	;; [unrolled: 3-line block ×4, first 2 shown]
	v_sub_f32_e32 v51, v53, v49
	v_sub_f32_e32 v53, v59, v55
	;; [unrolled: 1-line block ×5, first 2 shown]
	v_add_f32_e32 v102, v103, v107
	v_add_f32_e32 v115, v108, v114
	v_sub_f32_e32 v59, v20, v22
	v_add_f32_e32 v22, v22, v23
	v_sub_f32_e32 v72, v103, v104
	v_sub_f32_e32 v97, v104, v107
	;; [unrolled: 1-line block ×6, first 2 shown]
	v_add_f32_e32 v16, v16, v17
	v_sub_f32_e32 v23, v23, v20
	v_sub_f32_e32 v103, v107, v103
	;; [unrolled: 1-line block ×6, first 2 shown]
	v_add_f32_e32 v125, v19, v25
	v_add_f32_e32 v137, v26, v27
	;; [unrolled: 1-line block ×3, first 2 shown]
	v_mul_f32_e32 v19, 0x3f08b237, v21
	v_add_f32_e32 v21, v49, v24
	v_mul_f32_e32 v24, 0x3f4a47b2, v30
	v_mul_f32_e32 v25, 0x3d64c772, v31
	v_add_f32_e32 v26, v57, v32
	v_mul_f32_e32 v27, 0x3f4a47b2, v33
	;; [unrolled: 3-line block ×3, first 2 shown]
	v_mul_f32_e32 v34, 0xbf5ff5aa, v51
	v_mul_f32_e32 v35, 0xbf5ff5aa, v14
	;; [unrolled: 1-line block ×3, first 2 shown]
	v_add_f32_e32 v62, v104, v102
	v_add_f32_e32 v102, v113, v115
	v_sub_f32_e32 v17, v17, v15
	v_add_f32_e32 v119, v95, v93
	v_add_f32_e32 v123, v58, v52
	;; [unrolled: 1-line block ×4, first 2 shown]
	v_mul_f32_e32 v22, 0x3f4a47b2, v72
	v_mul_f32_e32 v57, 0x3d64c772, v97
	;; [unrolled: 1-line block ×4, first 2 shown]
	v_add_f32_e32 v15, v15, v16
	v_mul_f32_e32 v16, 0xbf5ff5aa, v23
	v_fmamk_f32 v156, v18, 0xbeae86e6, v19
	v_add_f32_e32 v13, v110, v26
	v_add_f32_e32 v12, v74, v29
	v_fmamk_f32 v74, v48, 0xbeae86e6, v31
	v_fma_f32 v34, 0x3eae86e6, v18, -v34
	v_fma_f32 v18, 0xbf3bfb3b, v53, -v24
	;; [unrolled: 1-line block ×6, first 2 shown]
	v_add_f32_e32 v49, v127, v62
	v_add_f32_e32 v48, v99, v102
	v_add_f32_e32 v121, v56, v54
	v_mul_f32_e32 v66, 0x3f4a47b2, v106
	v_add_f32_e32 v154, v119, v123
	v_fmamk_f32 v30, v30, 0x3f4a47b2, v25
	v_fmamk_f32 v33, v33, 0x3f4a47b2, v28
	v_fma_f32 v25, 0x3f3bfb3b, v53, -v25
	v_fma_f32 v14, 0x3f3bfb3b, v55, -v28
	v_fmamk_f32 v51, v59, 0xbeae86e6, v50
	v_fmamk_f32 v19, v72, 0x3f4a47b2, v57
	;; [unrolled: 1-line block ×4, first 2 shown]
	v_fma_f32 v59, 0x3eae86e6, v59, -v16
	v_fma_f32 v16, 0xbf3bfb3b, v103, -v22
	;; [unrolled: 1-line block ×4, first 2 shown]
	v_fmac_f32_e32 v156, 0xbee1c552, v21
	v_fmamk_f32 v26, v26, 0xbf955555, v13
	v_fmamk_f32 v29, v29, 0xbf955555, v12
	v_fmac_f32_e32 v74, 0xbee1c552, v32
	v_fmac_f32_e32 v34, 0xbee1c552, v21
	;; [unrolled: 1-line block ×5, first 2 shown]
	v_fmamk_f32 v21, v62, 0xbf955555, v49
	v_fmamk_f32 v32, v102, 0xbf955555, v48
	v_mul_f32_e32 v112, 0xbf5ff5aa, v17
	v_sub_f32_e32 v153, v121, v123
	v_add_f32_e32 v155, v125, v152
	v_fma_f32 v22, 0xbf3bfb3b, v107, -v66
	v_fma_f32 v72, 0xbf5ff5aa, v17, -v104
	;; [unrolled: 1-line block ×3, first 2 shown]
	v_add_f32_e32 v23, v121, v154
	v_fmac_f32_e32 v51, 0xbee1c552, v20
	v_fmac_f32_e32 v53, 0xbee1c552, v15
	;; [unrolled: 1-line block ×4, first 2 shown]
	v_add_f32_e32 v33, v33, v29
	v_add_f32_e32 v24, v24, v29
	;; [unrolled: 1-line block ×7, first 2 shown]
	v_sub_f32_e32 v113, v108, v114
	v_sub_f32_e32 v115, v114, v118
	v_add_f32_e32 v114, v114, v118
	v_sub_f32_e32 v117, v119, v121
	v_fma_f32 v66, 0x3eae86e6, v116, -v112
	v_mul_f32_e32 v103, 0x3d64c772, v153
	v_fmac_f32_e32 v72, 0xbee1c552, v15
	v_add_f32_e32 v55, v126, v23
	v_add_f32_e32 v30, v30, v26
	;; [unrolled: 1-line block ×6, first 2 shown]
	v_sub_f32_e32 v14, v33, v74
	v_sub_f32_e32 v16, v24, v27
	;; [unrolled: 1-line block ×3, first 2 shown]
	v_add_f32_e32 v18, v31, v25
	v_add_f32_e32 v21, v35, v20
	v_sub_f32_e32 v20, v25, v31
	v_add_f32_e32 v22, v27, v24
	v_add_f32_e32 v24, v74, v33
	v_sub_f32_e32 v26, v107, v53
	v_add_f32_e32 v29, v59, v110
	v_sub_f32_e32 v31, v57, v50
	;; [unrolled: 2-line block ×4, first 2 shown]
	v_add_f32_e32 v59, v137, v155
	v_add_f32_e32 v99, v108, v114
	v_fmac_f32_e32 v66, 0xbee1c552, v15
	v_fmamk_f32 v102, v117, 0x3f4a47b2, v103
	v_fmamk_f32 v114, v23, 0xbf955555, v55
	v_add_f32_e32 v15, v156, v30
	v_sub_f32_e32 v25, v30, v156
	v_add_f32_e32 v30, v72, v32
	v_sub_f32_e32 v32, v32, v72
	v_sub_f32_e32 v56, v56, v54
	;; [unrolled: 1-line block ×4, first 2 shown]
	v_mul_f32_e32 v72, 0x3d64c772, v53
	v_add_f32_e32 v54, v98, v59
	v_add_f32_e32 v27, v51, v106
	v_sub_f32_e32 v51, v106, v51
	v_mul_f32_e32 v57, 0x3f4a47b2, v117
	v_sub_f32_e32 v106, v123, v119
	v_mul_f32_e32 v97, 0x3f08b237, v115
	v_add_f32_e32 v17, v34, v104
	v_sub_f32_e32 v23, v104, v34
	v_sub_f32_e32 v28, v112, v66
	v_add_f32_e32 v34, v66, v112
	v_add_f32_e32 v66, v102, v114
	v_sub_f32_e32 v74, v95, v93
	v_fmamk_f32 v95, v58, 0x3f4a47b2, v72
	v_fmamk_f32 v59, v59, 0xbf955555, v54
	v_sub_f32_e32 v102, v118, v108
	v_mul_f32_e32 v58, 0x3f4a47b2, v58
	v_sub_f32_e32 v107, v152, v125
	v_fma_f32 v57, 0xbf3bfb3b, v106, -v57
	v_fmamk_f32 v62, v113, 0xbeae86e6, v97
	v_add_f32_e32 v104, v95, v59
	v_mul_f32_e32 v95, 0xbf5ff5aa, v102
	v_fma_f32 v58, 0xbf3bfb3b, v107, -v58
	v_fma_f32 v97, 0xbf5ff5aa, v102, -v97
	v_add_co_u32 v102, vcc_lo, 0x800, v138
	v_add_f32_e32 v112, v57, v114
	v_fma_f32 v57, 0x3f3bfb3b, v106, -v103
	v_add_co_ci_u32_e32 v103, vcc_lo, 0, v139, vcc_lo
	v_add_co_u32 v106, vcc_lo, 0xa80, v138
	v_fma_f32 v95, 0x3eae86e6, v113, -v95
	v_add_f32_e32 v113, v58, v59
	v_fma_f32 v58, 0x3f3bfb3b, v107, -v72
	v_add_co_ci_u32_e32 v107, vcc_lo, 0, v139, vcc_lo
	ds_read2_b32 v[118:119], v131 offset0:190 offset1:239
	ds_read2_b32 v[125:126], v132 offset0:108 offset1:157
	;; [unrolled: 1-line block ×3, first 2 shown]
	s_clause 0x2
	global_load_dwordx4 v[136:139], v[102:103], off offset:640
	global_load_dwordx4 v[152:155], v[106:107], off offset:32
	;; [unrolled: 1-line block ×3, first 2 shown]
	v_sub_f32_e32 v93, v56, v52
	v_sub_f32_e32 v98, v74, v56
	v_add_f32_e32 v56, v56, v52
	v_fmac_f32_e32 v62, 0xbee1c552, v99
	v_fmac_f32_e32 v95, 0xbee1c552, v99
	v_mul_f32_e32 v93, 0x3f08b237, v93
	v_add_f32_e32 v72, v57, v114
	v_add_f32_e32 v56, v74, v56
	v_sub_f32_e32 v74, v52, v74
	v_fmac_f32_e32 v97, 0xbee1c552, v99
	v_fmamk_f32 v108, v98, 0xbeae86e6, v93
	s_waitcnt vmcnt(11)
	v_mul_f32_e32 v99, v141, v124
	v_add_f32_e32 v57, v95, v112
	v_mul_f32_e32 v110, 0xbf5ff5aa, v74
	v_fma_f32 v74, 0xbf5ff5aa, v74, -v93
	v_add_f32_e32 v93, v58, v59
	s_waitcnt vmcnt(10) lgkmcnt(1)
	v_mul_f32_e32 v102, v147, v126
	s_waitcnt lgkmcnt(0)
	v_mul_f32_e32 v103, v143, v161
	v_fma_f32 v110, 0x3eae86e6, v98, -v110
	v_fmac_f32_e32 v74, 0xbee1c552, v56
	v_sub_f32_e32 v59, v72, v97
	v_add_f32_e32 v98, v97, v72
	s_waitcnt vmcnt(9)
	v_mul_f32_e32 v72, v151, v119
	v_fmac_f32_e32 v99, v96, v140
	v_add_f32_e32 v58, v74, v93
	v_sub_f32_e32 v97, v93, v74
	v_sub_f32_e32 v93, v112, v95
	v_mul_f32_e32 v74, v149, v120
	v_fmac_f32_e32 v102, v91, v146
	v_mul_f32_e32 v91, v91, v147
	v_fmac_f32_e32 v103, v89, v142
	v_mul_f32_e32 v95, v96, v141
	v_mul_f32_e32 v96, v145, v122
	;; [unrolled: 1-line block ×4, first 2 shown]
	v_fmac_f32_e32 v110, 0xbee1c552, v56
	v_fmac_f32_e32 v72, v87, v150
	;; [unrolled: 1-line block ×3, first 2 shown]
	v_fma_f32 v91, v146, v126, -v91
	v_fma_f32 v112, v140, v124, -v95
	v_mul_f32_e32 v94, v94, v149
	v_mul_f32_e32 v87, v87, v151
	v_fma_f32 v107, v144, v122, -v107
	v_fma_f32 v89, v142, v161, -v89
	ds_read2_b32 v[121:122], v129 offset0:98 offset1:147
	v_fmac_f32_e32 v96, v92, v144
	v_fmac_f32_e32 v108, 0xbee1c552, v56
	v_sub_f32_e32 v56, v113, v110
	v_add_f32_e32 v116, v112, v91
	v_fma_f32 v114, v148, v120, -v94
	v_fma_f32 v87, v150, v119, -v87
	v_add_f32_e32 v117, v89, v107
	v_sub_f32_e32 v119, v103, v96
	v_add_f32_e32 v92, v110, v113
	v_sub_f32_e32 v110, v99, v102
	v_add_f32_e32 v99, v99, v102
	v_add_f32_e32 v96, v103, v96
	v_sub_f32_e32 v106, v72, v74
	v_add_f32_e32 v94, v87, v114
	v_add_f32_e32 v113, v116, v117
	;; [unrolled: 1-line block ×4, first 2 shown]
	v_sub_f32_e32 v87, v87, v114
	v_sub_f32_e32 v89, v89, v107
	v_add_f32_e32 v53, v62, v66
	v_sub_f32_e32 v115, v106, v119
	v_sub_f32_e32 v95, v66, v62
	;; [unrolled: 1-line block ×3, first 2 shown]
	v_add_f32_e32 v113, v94, v113
	v_add_f32_e32 v106, v106, v119
	v_sub_f32_e32 v103, v72, v96
	v_sub_f32_e32 v107, v99, v72
	v_add_f32_e32 v72, v72, v102
	v_sub_f32_e32 v91, v112, v91
	v_sub_f32_e32 v102, v87, v89
	v_sub_f32_e32 v66, v94, v117
	v_mul_f32_e32 v124, 0x3f08b237, v115
	v_sub_f32_e32 v120, v116, v94
	s_waitcnt lgkmcnt(0)
	v_add_f32_e32 v115, v122, v113
	v_add_f32_e32 v106, v110, v106
	v_mul_f32_e32 v126, 0x3d64c772, v103
	v_sub_f32_e32 v112, v91, v87
	v_mul_f32_e32 v127, 0x3f08b237, v102
	v_add_f32_e32 v87, v87, v89
	v_sub_f32_e32 v110, v119, v110
	v_mul_f32_e32 v102, 0x3f4a47b2, v107
	v_sub_f32_e32 v96, v96, v99
	v_sub_f32_e32 v89, v89, v91
	ds_read2_b32 v[122:123], v133 offset0:136 offset1:185
	v_mul_f32_e32 v66, 0x3d64c772, v66
	v_mul_f32_e32 v74, 0x3f4a47b2, v120
	v_add_f32_e32 v114, v85, v72
	v_fmamk_f32 v85, v107, 0x3f4a47b2, v126
	v_fmamk_f32 v140, v112, 0xbeae86e6, v127
	v_add_f32_e32 v87, v91, v87
	v_mul_f32_e32 v107, 0xbf5ff5aa, v110
	v_sub_f32_e32 v116, v117, v116
	v_fma_f32 v91, 0xbf3bfb3b, v96, -v102
	v_mul_f32_e32 v99, 0xbf5ff5aa, v89
	v_fma_f32 v89, 0xbf5ff5aa, v89, -v127
	v_fma_f32 v96, 0x3f3bfb3b, v96, -v126
	ds_read2_b32 v[126:127], v134 offset0:100 offset1:149
	v_sub_f32_e32 v52, v104, v108
	v_add_f32_e32 v94, v108, v104
	v_fmamk_f32 v104, v62, 0xbeae86e6, v124
	v_fmamk_f32 v108, v120, 0x3f4a47b2, v66
	;; [unrolled: 1-line block ×3, first 2 shown]
	v_fma_f32 v62, 0x3eae86e6, v62, -v107
	v_fma_f32 v74, 0xbf3bfb3b, v116, -v74
	ds_read2_b32 v[119:120], v135 offset0:54 offset1:103
	v_fma_f32 v99, 0x3eae86e6, v112, -v99
	v_fmamk_f32 v72, v72, 0xbf955555, v114
	v_fmac_f32_e32 v62, 0xbee1c552, v106
	v_add_f32_e32 v74, v74, v113
	v_fmac_f32_e32 v140, 0xbee1c552, v87
	v_fma_f32 v66, 0x3f3bfb3b, v116, -v66
	v_fma_f32 v110, 0xbf5ff5aa, v110, -v124
	v_fmac_f32_e32 v99, 0xbee1c552, v87
	v_fmac_f32_e32 v89, 0xbee1c552, v87
	v_add_f32_e32 v107, v62, v74
	v_sub_f32_e32 v87, v74, v62
	s_waitcnt vmcnt(4) lgkmcnt(2)
	v_mul_f32_e32 v62, v45, v123
	v_mul_f32_e32 v74, v43, v125
	;; [unrolled: 1-line block ×3, first 2 shown]
	v_add_f32_e32 v85, v85, v72
	v_add_f32_e32 v91, v91, v72
	;; [unrolled: 1-line block ×3, first 2 shown]
	v_fmac_f32_e32 v110, 0xbee1c552, v106
	v_add_f32_e32 v72, v96, v72
	v_fmac_f32_e32 v62, v83, v44
	v_fmac_f32_e32 v74, v90, v42
	v_mul_f32_e32 v45, v83, v45
	s_waitcnt lgkmcnt(1)
	v_mul_f32_e32 v83, v41, v127
	v_fma_f32 v42, v42, v125, -v43
	v_mul_f32_e32 v41, v81, v41
	v_mul_f32_e32 v43, v88, v47
	v_add_f32_e32 v108, v108, v113
	v_sub_f32_e32 v113, v66, v110
	v_add_f32_e32 v112, v89, v72
	v_add_f32_e32 v117, v110, v66
	v_sub_f32_e32 v116, v72, v89
	v_mul_f32_e32 v66, v39, v118
	s_waitcnt lgkmcnt(0)
	v_mul_f32_e32 v72, v37, v120
	v_fma_f32 v44, v44, v123, -v45
	v_mul_f32_e32 v37, v79, v37
	v_mul_f32_e32 v39, v86, v39
	v_fma_f32 v41, v40, v127, -v41
	v_fma_f32 v43, v46, v160, -v43
	v_fmac_f32_e32 v66, v86, v38
	v_fmac_f32_e32 v72, v79, v36
	v_mul_f32_e32 v89, v47, v160
	v_fmac_f32_e32 v83, v81, v40
	v_add_f32_e32 v40, v44, v42
	v_fma_f32 v45, v36, v120, -v37
	v_fma_f32 v38, v38, v118, -v39
	v_add_f32_e32 v79, v43, v41
	v_fmac_f32_e32 v89, v88, v46
	v_sub_f32_e32 v90, v66, v72
	v_fmac_f32_e32 v104, 0xbee1c552, v106
	v_add_f32_e32 v36, v38, v45
	v_add_f32_e32 v39, v40, v79
	v_sub_f32_e32 v81, v89, v83
	v_sub_f32_e32 v106, v91, v99
	v_add_f32_e32 v86, v99, v91
	v_sub_f32_e32 v47, v36, v79
	v_add_f32_e32 v39, v36, v39
	v_sub_f32_e32 v88, v62, v74
	v_sub_f32_e32 v46, v90, v81
	v_add_f32_e32 v103, v104, v108
	v_mul_f32_e32 v99, 0x3d64c772, v47
	v_add_f32_e32 v47, v121, v39
	v_sub_f32_e32 v37, v108, v104
	v_sub_f32_e32 v91, v88, v90
	v_mul_f32_e32 v96, 0x3f08b237, v46
	v_add_f32_e32 v46, v90, v81
	v_sub_f32_e32 v90, v40, v36
	v_fmamk_f32 v108, v39, 0xbf955555, v47
	v_add_f32_e32 v39, v66, v72
	v_add_f32_e32 v66, v89, v83
	;; [unrolled: 1-line block ×4, first 2 shown]
	v_fmamk_f32 v46, v90, 0x3f4a47b2, v99
	v_sub_f32_e32 v38, v38, v45
	v_sub_f32_e32 v41, v43, v41
	v_add_f32_e32 v83, v62, v66
	v_sub_f32_e32 v42, v44, v42
	v_mul_f32_e32 v72, 0x3f4a47b2, v90
	v_add_f32_e32 v74, v46, v108
	v_sub_f32_e32 v46, v39, v66
	v_add_f32_e32 v43, v39, v83
	v_sub_f32_e32 v44, v38, v41
	v_sub_f32_e32 v90, v42, v38
	v_add_f32_e32 v38, v38, v41
	v_mul_f32_e32 v45, 0x3d64c772, v46
	v_add_f32_e32 v46, v84, v43
	v_sub_f32_e32 v81, v81, v88
	v_sub_f32_e32 v89, v62, v39
	v_add_f32_e32 v120, v42, v38
	v_sub_f32_e32 v38, v41, v42
	v_mul_f32_e32 v44, 0x3f08b237, v44
	v_fmamk_f32 v110, v43, 0xbf955555, v46
	v_mul_f32_e32 v43, 0xbf5ff5aa, v81
	v_sub_f32_e32 v102, v85, v140
	v_mul_f32_e32 v41, 0xbf5ff5aa, v38
	v_add_f32_e32 v36, v140, v85
	v_fmamk_f32 v85, v91, 0xbeae86e6, v96
	v_mul_f32_e32 v88, 0x3f4a47b2, v89
	v_fmamk_f32 v118, v90, 0xbeae86e6, v44
	v_fma_f32 v123, 0x3eae86e6, v91, -v43
	v_sub_f32_e32 v42, v66, v62
	v_fma_f32 v66, 0x3eae86e6, v90, -v41
	ds_read2_b32 v[90:91], v132 offset0:10 offset1:59
	v_fmamk_f32 v83, v89, 0x3f4a47b2, v45
	v_sub_f32_e32 v40, v79, v40
	v_fma_f32 v62, 0xbf3bfb3b, v42, -v88
	ds_read2_b32 v[88:89], v130 offset0:174 offset1:223
	v_fma_f32 v44, 0xbf5ff5aa, v38, -v44
	v_add_f32_e32 v121, v83, v110
	ds_read2_b32 v[83:84], v131 offset0:92 offset1:141
	v_fma_f32 v43, 0xbf3bfb3b, v40, -v72
	v_fma_f32 v40, 0x3f3bfb3b, v40, -v99
	v_fmac_f32_e32 v118, 0xbee1c552, v120
	v_fma_f32 v72, 0xbf5ff5aa, v81, -v96
	v_fmac_f32_e32 v66, 0xbee1c552, v120
	v_add_f32_e32 v79, v43, v108
	v_add_f32_e32 v81, v40, v108
	v_fmac_f32_e32 v44, 0xbee1c552, v120
	v_mul_f32_e32 v96, v5, v122
	v_mul_f32_e32 v120, v9, v126
	;; [unrolled: 1-line block ×4, first 2 shown]
	s_waitcnt lgkmcnt(2)
	v_mul_f32_e32 v124, v11, v91
	v_fmac_f32_e32 v85, 0xbee1c552, v104
	v_fmac_f32_e32 v123, 0xbee1c552, v104
	;; [unrolled: 1-line block ×3, first 2 shown]
	s_waitcnt lgkmcnt(1)
	v_mul_f32_e32 v108, v7, v89
	v_fmac_f32_e32 v124, v77, v10
	v_mul_f32_e32 v77, v77, v11
	v_mul_f32_e32 v7, v71, v7
	s_waitcnt vmcnt(3) lgkmcnt(0)
	v_mul_f32_e32 v99, v3, v84
	v_mul_f32_e32 v104, v1, v119
	v_fmac_f32_e32 v108, v71, v6
	v_fmac_f32_e32 v96, v82, v4
	v_fma_f32 v77, v10, v91, -v77
	v_fma_f32 v71, v4, v122, -v5
	v_mul_f32_e32 v1, v78, v1
	v_mul_f32_e32 v5, v69, v3
	v_fma_f32 v9, v8, v126, -v9
	v_fma_f32 v7, v6, v89, -v7
	ds_read2_b32 v[3:4], v129 offset1:49
	v_add_f32_e32 v62, v62, v110
	v_fmac_f32_e32 v99, v69, v2
	v_fmac_f32_e32 v104, v78, v0
	;; [unrolled: 1-line block ×3, first 2 shown]
	v_add_f32_e32 v69, v71, v77
	v_fma_f32 v0, v0, v119, -v1
	v_fma_f32 v1, v2, v84, -v5
	v_add_f32_e32 v2, v7, v9
	v_sub_f32_e32 v40, v62, v66
	v_sub_f32_e32 v125, v99, v104
	;; [unrolled: 1-line block ×3, first 2 shown]
	v_add_f32_e32 v10, v66, v62
	v_add_f32_e32 v8, v1, v0
	;; [unrolled: 1-line block ×3, first 2 shown]
	v_sub_f32_e32 v43, v81, v72
	v_fma_f32 v42, 0x3f3bfb3b, v42, -v45
	v_add_f32_e32 v45, v72, v81
	v_sub_f32_e32 v72, v96, v124
	v_add_f32_e32 v6, v125, v127
	v_add_f32_e32 v66, v8, v66
	;; [unrolled: 1-line block ×6, first 2 shown]
	v_sub_f32_e32 v6, v74, v85
	v_sub_f32_e32 v74, v8, v2
	;; [unrolled: 1-line block ×3, first 2 shown]
	s_waitcnt lgkmcnt(0)
	v_add_f32_e32 v8, v4, v66
	v_add_f32_e32 v4, v99, v104
	;; [unrolled: 1-line block ×3, first 2 shown]
	v_sub_f32_e32 v0, v1, v0
	v_sub_f32_e32 v1, v7, v9
	v_fmamk_f32 v91, v66, 0xbf955555, v8
	v_sub_f32_e32 v66, v4, v82
	v_add_f32_e32 v85, v4, v85
	v_sub_f32_e32 v4, v80, v4
	v_add_f32_e32 v41, v123, v79
	v_sub_f32_e32 v81, v125, v127
	v_mul_f32_e32 v9, 0x3d64c772, v66
	v_add_f32_e32 v7, v65, v85
	v_sub_f32_e32 v11, v79, v123
	v_sub_f32_e32 v79, v72, v125
	v_sub_f32_e32 v65, v71, v77
	v_fmamk_f32 v71, v4, 0x3f4a47b2, v9
	v_fmamk_f32 v77, v85, 0xbf955555, v7
	v_sub_f32_e32 v72, v127, v72
	v_mul_f32_e32 v81, 0x3f08b237, v81
	v_mul_f32_e32 v74, 0x3d64c772, v74
	;; [unrolled: 1-line block ×3, first 2 shown]
	v_sub_f32_e32 v66, v0, v1
	v_sub_f32_e32 v85, v65, v0
	v_add_f32_e32 v99, v71, v77
	v_add_f32_e32 v0, v0, v1
	v_mul_f32_e32 v71, 0xbf5ff5aa, v72
	v_sub_f32_e32 v2, v2, v69
	v_sub_f32_e32 v1, v1, v65
	v_fmamk_f32 v84, v84, 0x3f4a47b2, v74
	v_mul_f32_e32 v96, 0x3f08b237, v66
	v_sub_f32_e32 v69, v82, v80
	v_add_f32_e32 v0, v65, v0
	v_fma_f32 v82, 0x3eae86e6, v79, -v71
	v_fma_f32 v65, 0xbf3bfb3b, v2, -v89
	v_mul_f32_e32 v71, 0xbf5ff5aa, v1
	v_fma_f32 v2, 0x3f3bfb3b, v2, -v74
	v_fma_f32 v74, 0xbf5ff5aa, v72, -v81
	v_fmamk_f32 v62, v79, 0xbeae86e6, v81
	v_mul_f32_e32 v4, 0x3f4a47b2, v4
	v_fmamk_f32 v104, v85, 0xbeae86e6, v96
	v_fmac_f32_e32 v82, 0xbee1c552, v78
	v_add_f32_e32 v89, v65, v91
	v_fma_f32 v85, 0x3eae86e6, v85, -v71
	v_fma_f32 v1, 0xbf5ff5aa, v1, -v96
	;; [unrolled: 1-line block ×3, first 2 shown]
	v_add_f32_e32 v2, v2, v91
	v_fmac_f32_e32 v74, 0xbee1c552, v78
	v_fmac_f32_e32 v62, 0xbee1c552, v78
	v_fma_f32 v4, 0xbf3bfb3b, v69, -v4
	v_fmac_f32_e32 v104, 0xbee1c552, v0
	v_fmac_f32_e32 v85, 0xbee1c552, v0
	;; [unrolled: 1-line block ×3, first 2 shown]
	v_add_f32_e32 v0, v9, v77
	v_add_f32_e32 v72, v82, v89
	v_sub_f32_e32 v78, v2, v74
	v_add_f32_e32 v80, v74, v2
	s_waitcnt vmcnt(2)
	v_mul_f32_e32 v2, v137, v111
	v_sub_f32_e32 v69, v89, v82
	v_mul_f32_e32 v81, v139, v88
	s_waitcnt vmcnt(1)
	v_mul_f32_e32 v89, v153, v109
	v_add_f32_e32 v4, v4, v77
	v_add_f32_e32 v77, v1, v0
	v_sub_f32_e32 v79, v0, v1
	s_waitcnt vmcnt(0)
	v_mul_f32_e32 v0, v159, v83
	v_mul_f32_e32 v1, v157, v105
	v_fmac_f32_e32 v2, v75, v136
	v_mul_f32_e32 v74, v76, v155
	v_fmac_f32_e32 v81, v70, v138
	;; [unrolled: 2-line block ×3, first 2 shown]
	v_mul_f32_e32 v73, v73, v153
	v_mul_f32_e32 v70, v70, v139
	v_add_f32_e32 v84, v84, v91
	v_mul_f32_e32 v9, v155, v90
	v_fmac_f32_e32 v0, v68, v158
	v_fmac_f32_e32 v1, v67, v156
	v_fma_f32 v90, v154, v90, -v74
	v_fma_f32 v75, v136, v111, -v75
	v_mul_f32_e32 v67, v67, v157
	v_mul_f32_e32 v68, v68, v159
	v_fma_f32 v91, v152, v109, -v73
	v_fma_f32 v70, v138, v88, -v70
	v_add_f32_e32 v96, v75, v90
	v_fma_f32 v67, v156, v105, -v67
	v_fma_f32 v83, v158, v83, -v68
	v_sub_f32_e32 v71, v4, v85
	v_add_f32_e32 v105, v70, v91
	v_add_f32_e32 v68, v85, v4
	;; [unrolled: 1-line block ×4, first 2 shown]
	v_fmac_f32_e32 v9, v76, v154
	v_add_f32_e32 v108, v96, v105
	v_sub_f32_e32 v74, v84, v62
	v_sub_f32_e32 v76, v0, v1
	;; [unrolled: 1-line block ×4, first 2 shown]
	v_add_f32_e32 v84, v85, v108
	v_sub_f32_e32 v88, v81, v89
	v_sub_f32_e32 v85, v96, v85
	v_mul_f32_e32 v62, 0x3d64c772, v62
	v_add_f32_e32 v9, v2, v9
	v_add_f32_e32 v3, v3, v84
	;; [unrolled: 1-line block ×3, first 2 shown]
	v_sub_f32_e32 v73, v76, v88
	v_fmamk_f32 v2, v85, 0x3f4a47b2, v62
	v_add_f32_e32 v0, v0, v1
	v_fmamk_f32 v84, v84, 0xbf955555, v3
	v_add_f32_e32 v1, v9, v81
	v_sub_f32_e32 v65, v99, v104
	v_mul_f32_e32 v109, 0x3f08b237, v73
	v_add_f32_e32 v73, v104, v99
	v_add_f32_e32 v104, v2, v84
	v_sub_f32_e32 v2, v0, v81
	v_add_f32_e32 v1, v0, v1
	v_sub_f32_e32 v67, v83, v67
	v_sub_f32_e32 v70, v70, v91
	;; [unrolled: 1-line block ×3, first 2 shown]
	v_mul_f32_e32 v83, 0x3d64c772, v2
	v_add_f32_e32 v2, v64, v1
	v_sub_f32_e32 v64, v75, v90
	v_sub_f32_e32 v4, v82, v76
	v_add_f32_e32 v76, v76, v88
	v_sub_f32_e32 v75, v67, v70
	v_fmamk_f32 v90, v0, 0x3f4a47b2, v83
	v_sub_f32_e32 v91, v64, v67
	v_add_f32_e32 v67, v67, v70
	v_mul_f32_e32 v0, 0x3f4a47b2, v0
	v_sub_f32_e32 v9, v81, v9
	v_add_f32_e32 v89, v82, v76
	v_mul_f32_e32 v85, 0x3f4a47b2, v85
	v_fmamk_f32 v1, v1, 0xbf955555, v2
	v_mul_f32_e32 v108, 0x3f08b237, v75
	v_sub_f32_e32 v82, v88, v82
	v_add_f32_e32 v67, v64, v67
	v_sub_f32_e32 v88, v105, v96
	v_sub_f32_e32 v64, v70, v64
	v_fma_f32 v0, 0xbf3bfb3b, v9, -v0
	v_fma_f32 v9, 0x3f3bfb3b, v9, -v83
	v_mul_hi_u32 v83, 0xbf112a8b, v128
	v_add_f32_e32 v110, v42, v110
	v_mul_f32_e32 v75, 0xbf5ff5aa, v82
	v_fma_f32 v70, 0xbf3bfb3b, v88, -v85
	v_mul_f32_e32 v81, 0xbf5ff5aa, v64
	v_add_f32_e32 v85, v0, v1
	v_fma_f32 v0, 0x3f3bfb3b, v88, -v62
	v_fma_f32 v62, 0xbf5ff5aa, v82, -v109
	;; [unrolled: 1-line block ×3, first 2 shown]
	v_add_f32_e32 v42, v44, v110
	v_sub_f32_e32 v44, v110, v44
	v_fmamk_f32 v99, v4, 0xbeae86e6, v109
	v_add_f32_e32 v110, v90, v1
	v_fma_f32 v4, 0x3eae86e6, v4, -v75
	v_add_f32_e32 v0, v0, v84
	v_fmac_f32_e32 v62, 0xbee1c552, v89
	v_fmac_f32_e32 v64, 0xbee1c552, v67
	v_add_f32_e32 v1, v9, v1
	v_lshrrev_b32_e32 v9, 8, v83
	v_fmac_f32_e32 v99, 0xbee1c552, v89
	v_fmac_f32_e32 v4, 0xbee1c552, v89
	v_add_f32_e32 v70, v70, v84
	v_sub_f32_e32 v84, v0, v62
	v_add_f32_e32 v83, v64, v1
	v_add_f32_e32 v89, v62, v0
	v_sub_f32_e32 v88, v1, v64
	v_lshlrev_b64 v[0:1], 3, v[100:101]
	v_mul_u32_u24_e32 v9, 0x157, v9
	v_fmamk_f32 v111, v91, 0xbeae86e6, v108
	v_fma_f32 v90, 0x3eae86e6, v91, -v81
	v_add_f32_e32 v82, v4, v70
	v_sub_f32_e32 v91, v70, v4
	v_sub_nc_u32_e32 v4, v128, v9
	v_add_co_u32 v0, vcc_lo, s10, v0
	v_add_co_ci_u32_e32 v1, vcc_lo, s11, v1, vcc_lo
	v_lshlrev_b32_e32 v4, 3, v4
	v_add_co_u32 v0, vcc_lo, v0, v60
	v_add_co_ci_u32_e32 v1, vcc_lo, v1, v61, vcc_lo
	v_add_f32_e32 v76, v99, v104
	v_sub_f32_e32 v62, v104, v99
	v_add_co_u32 v99, vcc_lo, v0, v4
	v_add_nc_u32_e32 v4, 49, v128
	v_add_co_ci_u32_e32 v100, vcc_lo, 0, v1, vcc_lo
	v_add_co_u32 v104, vcc_lo, 0x800, v99
	v_mul_hi_u32 v9, 0xbf112a8b, v4
	v_fmac_f32_e32 v111, 0xbee1c552, v67
	v_fmac_f32_e32 v90, 0xbee1c552, v67
	v_add_co_ci_u32_e32 v105, vcc_lo, 0, v100, vcc_lo
	v_add_co_u32 v108, vcc_lo, 0x1000, v99
	v_add_co_ci_u32_e32 v109, vcc_lo, 0, v100, vcc_lo
	v_lshrrev_b32_e32 v9, 8, v9
	v_sub_f32_e32 v75, v110, v111
	v_add_f32_e32 v61, v111, v110
	v_add_co_u32 v110, vcc_lo, 0x2000, v99
	v_mul_u32_u24_e32 v60, 0x157, v9
	v_sub_f32_e32 v81, v85, v90
	v_add_f32_e32 v90, v90, v85
	v_add_co_ci_u32_e32 v111, vcc_lo, 0, v100, vcc_lo
	v_sub_nc_u32_e32 v4, v4, v60
	global_store_dwordx2 v[99:100], v[2:3], off
	global_store_dwordx2 v[104:105], v[61:62], off offset:696
	global_store_dwordx2 v[108:109], v[90:91], off offset:1392
	;; [unrolled: 1-line block ×3, first 2 shown]
	v_add_co_u32 v2, vcc_lo, 0x2800, v99
	v_add_co_ci_u32_e32 v3, vcc_lo, 0, v100, vcc_lo
	v_add_co_u32 v60, vcc_lo, 0x3000, v99
	v_mad_u32_u24 v62, 0x961, v9, v4
	v_add_co_ci_u32_e32 v61, vcc_lo, 0, v100, vcc_lo
	v_add_co_u32 v88, vcc_lo, 0x4000, v99
	v_add_co_ci_u32_e32 v89, vcc_lo, 0, v100, vcc_lo
	global_store_dwordx2 v[2:3], v[83:84], off offset:736
	global_store_dwordx2 v[60:61], v[81:82], off offset:1432
	v_lshlrev_b64 v[2:3], 3, v[62:63]
	v_add_nc_u32_e32 v4, 0x62, v128
	v_add_nc_u32_e32 v90, 0x157, v62
	v_mov_b32_e32 v91, v63
	global_store_dwordx2 v[88:89], v[75:76], off offset:80
	v_add_nc_u32_e32 v75, 0x2ae, v62
	v_mov_b32_e32 v76, v63
	v_mul_hi_u32 v9, 0xbf112a8b, v4
	v_add_co_u32 v2, vcc_lo, v0, v2
	v_lshlrev_b64 v[60:61], 3, v[90:91]
	v_add_co_ci_u32_e32 v3, vcc_lo, v1, v3, vcc_lo
	v_add_nc_u32_e32 v81, 0x405, v62
	v_mov_b32_e32 v82, v63
	v_lshlrev_b64 v[75:76], 3, v[75:76]
	v_add_nc_u32_e32 v83, 0x55c, v62
	v_mov_b32_e32 v84, v63
	v_add_co_u32 v60, vcc_lo, v0, v60
	global_store_dwordx2 v[2:3], v[7:8], off
	v_lshlrev_b64 v[2:3], 3, v[81:82]
	v_lshrrev_b32_e32 v9, 8, v9
	v_add_co_ci_u32_e32 v61, vcc_lo, v1, v61, vcc_lo
	v_add_co_u32 v75, vcc_lo, v0, v75
	v_lshlrev_b64 v[7:8], 3, v[83:84]
	v_add_co_ci_u32_e32 v76, vcc_lo, v1, v76, vcc_lo
	v_mul_u32_u24_e32 v64, 0x157, v9
	v_add_co_u32 v2, vcc_lo, v0, v2
	v_add_co_ci_u32_e32 v3, vcc_lo, v1, v3, vcc_lo
	global_store_dwordx2 v[60:61], v[73:74], off
	global_store_dwordx2 v[75:76], v[68:69], off
	v_add_nc_u32_e32 v60, 0x6b3, v62
	v_mov_b32_e32 v61, v63
	v_add_co_u32 v7, vcc_lo, v0, v7
	v_add_nc_u32_e32 v62, 0x80a, v62
	v_sub_nc_u32_e32 v4, v4, v64
	v_add_co_ci_u32_e32 v8, vcc_lo, v1, v8, vcc_lo
	v_lshlrev_b64 v[60:61], 3, v[60:61]
	global_store_dwordx2 v[2:3], v[79:80], off
	global_store_dwordx2 v[7:8], v[77:78], off
	v_lshlrev_b64 v[2:3], 3, v[62:63]
	v_mad_u32_u24 v62, 0x961, v9, v4
	v_mov_b32_e32 v68, v63
	v_add_co_u32 v7, vcc_lo, v0, v60
	v_add_co_ci_u32_e32 v8, vcc_lo, v1, v61, vcc_lo
	v_add_nc_u32_e32 v67, 0x157, v62
	v_lshlrev_b64 v[60:61], 3, v[62:63]
	v_add_co_u32 v2, vcc_lo, v0, v2
	v_add_co_ci_u32_e32 v3, vcc_lo, v1, v3, vcc_lo
	v_lshlrev_b64 v[67:68], 3, v[67:68]
	v_add_co_u32 v60, vcc_lo, v0, v60
	v_add_co_ci_u32_e32 v61, vcc_lo, v1, v61, vcc_lo
	v_add_f32_e32 v5, v118, v121
	v_add_co_u32 v67, vcc_lo, v0, v67
	v_add_co_ci_u32_e32 v68, vcc_lo, v1, v68, vcc_lo
	global_store_dwordx2 v[7:8], v[71:72], off
	global_store_dwordx2 v[2:3], v[65:66], off
	;; [unrolled: 1-line block ×4, first 2 shown]
	v_add_nc_u32_e32 v46, 0x93, v128
	v_add_nc_u32_e32 v69, 0x2ae, v62
	v_mov_b32_e32 v70, v63
	v_add_nc_u32_e32 v4, 0x405, v62
	v_mov_b32_e32 v5, v63
	v_mul_hi_u32 v47, 0xbf112a8b, v46
	v_add_nc_u32_e32 v6, 0x55c, v62
	v_lshlrev_b64 v[2:3], 3, v[69:70]
	v_mov_b32_e32 v7, v63
	v_lshlrev_b64 v[4:5], 3, v[4:5]
	v_add_nc_u32_e32 v8, 0x6b3, v62
	v_mov_b32_e32 v9, v63
	v_add_nc_u32_e32 v62, 0x80a, v62
	v_lshrrev_b32_e32 v60, 8, v47
	v_add_co_u32 v2, vcc_lo, v0, v2
	v_lshlrev_b64 v[6:7], 3, v[6:7]
	v_add_co_ci_u32_e32 v3, vcc_lo, v1, v3, vcc_lo
	v_mul_u32_u24_e32 v47, 0x157, v60
	v_add_co_u32 v4, vcc_lo, v0, v4
	v_lshlrev_b64 v[8:9], 3, v[8:9]
	v_add_co_ci_u32_e32 v5, vcc_lo, v1, v5, vcc_lo
	v_sub_nc_u32_e32 v61, v46, v47
	v_add_co_u32 v6, vcc_lo, v0, v6
	v_add_co_ci_u32_e32 v7, vcc_lo, v1, v7, vcc_lo
	v_lshlrev_b64 v[46:47], 3, v[62:63]
	v_mad_u32_u24 v62, 0x961, v60, v61
	v_add_co_u32 v8, vcc_lo, v0, v8
	v_add_co_ci_u32_e32 v9, vcc_lo, v1, v9, vcc_lo
	global_store_dwordx2 v[2:3], v[10:11], off
	global_store_dwordx2 v[4:5], v[44:45], off
	global_store_dwordx2 v[6:7], v[42:43], off
	global_store_dwordx2 v[8:9], v[40:41], off
	v_add_nc_u32_e32 v4, 0x157, v62
	v_mov_b32_e32 v5, v63
	v_lshlrev_b64 v[2:3], 3, v[62:63]
	v_add_co_u32 v6, vcc_lo, v0, v46
	v_add_co_ci_u32_e32 v7, vcc_lo, v1, v47, vcc_lo
	v_lshlrev_b64 v[4:5], 3, v[4:5]
	v_add_co_u32 v2, vcc_lo, v0, v2
	v_add_co_ci_u32_e32 v3, vcc_lo, v1, v3, vcc_lo
	v_sub_f32_e32 v38, v121, v118
	v_add_co_u32 v4, vcc_lo, v0, v4
	v_add_nc_u32_e32 v10, 0x405, v62
	v_mov_b32_e32 v11, v63
	v_add_co_ci_u32_e32 v5, vcc_lo, v1, v5, vcc_lo
	v_add_nc_u32_e32 v8, 0x2ae, v62
	v_mov_b32_e32 v9, v63
	global_store_dwordx2 v[6:7], v[38:39], off
	global_store_dwordx2 v[2:3], v[114:115], off
	;; [unrolled: 1-line block ×3, first 2 shown]
	v_lshlrev_b64 v[2:3], 3, v[10:11]
	v_add_nc_u32_e32 v10, 0xc4, v128
	v_lshlrev_b64 v[6:7], 3, v[8:9]
	v_add_nc_u32_e32 v8, 0x6b3, v62
	v_add_nc_u32_e32 v36, 0xf5, v128
	v_mul_hi_u32 v11, 0xbf112a8b, v10
	v_add_co_u32 v4, vcc_lo, v0, v6
	v_add_co_ci_u32_e32 v5, vcc_lo, v1, v7, vcc_lo
	v_add_co_u32 v2, vcc_lo, v0, v2
	v_add_nc_u32_e32 v6, 0x55c, v62
	v_mov_b32_e32 v7, v63
	v_add_co_ci_u32_e32 v3, vcc_lo, v1, v3, vcc_lo
	v_lshrrev_b32_e32 v11, 8, v11
	global_store_dwordx2 v[4:5], v[86:87], off
	v_lshlrev_b64 v[4:5], 3, v[6:7]
	global_store_dwordx2 v[2:3], v[116:117], off
	v_lshlrev_b64 v[2:3], 3, v[8:9]
	v_add_nc_u32_e32 v62, 0x80a, v62
	v_mul_u32_u24_e32 v8, 0x157, v11
	v_mul_hi_u32 v37, 0xbf112a8b, v36
	v_add_co_u32 v4, vcc_lo, v0, v4
	v_lshlrev_b64 v[6:7], 3, v[62:63]
	v_sub_nc_u32_e32 v8, v10, v8
	v_add_co_ci_u32_e32 v5, vcc_lo, v1, v5, vcc_lo
	v_add_co_u32 v2, vcc_lo, v0, v2
	v_add_co_ci_u32_e32 v3, vcc_lo, v1, v3, vcc_lo
	v_mad_u32_u24 v62, 0x961, v11, v8
	v_add_co_u32 v6, vcc_lo, v0, v6
	v_add_co_ci_u32_e32 v7, vcc_lo, v1, v7, vcc_lo
	v_add_nc_u32_e32 v8, 0x157, v62
	global_store_dwordx2 v[4:5], v[112:113], off
	global_store_dwordx2 v[2:3], v[106:107], off
	v_lshlrev_b64 v[2:3], 3, v[62:63]
	global_store_dwordx2 v[6:7], v[102:103], off
	v_add_nc_u32_e32 v6, 0x2ae, v62
	v_mov_b32_e32 v7, v63
	v_lshlrev_b64 v[4:5], 3, v[8:9]
	v_add_nc_u32_e32 v8, 0x405, v62
	v_add_co_u32 v2, vcc_lo, v0, v2
	v_lshlrev_b64 v[6:7], 3, v[6:7]
	v_add_co_ci_u32_e32 v3, vcc_lo, v1, v3, vcc_lo
	v_add_co_u32 v4, vcc_lo, v0, v4
	v_add_co_ci_u32_e32 v5, vcc_lo, v1, v5, vcc_lo
	v_add_co_u32 v6, vcc_lo, v0, v6
	v_add_nc_u32_e32 v10, 0x55c, v62
	v_mov_b32_e32 v11, v63
	v_add_co_ci_u32_e32 v7, vcc_lo, v1, v7, vcc_lo
	global_store_dwordx2 v[2:3], v[54:55], off
	v_lshlrev_b64 v[2:3], 3, v[8:9]
	v_lshrrev_b32_e32 v8, 8, v37
	global_store_dwordx2 v[4:5], v[94:95], off
	global_store_dwordx2 v[6:7], v[92:93], off
	v_lshlrev_b64 v[4:5], 3, v[10:11]
	v_add_nc_u32_e32 v6, 0x6b3, v62
	v_mov_b32_e32 v7, v63
	v_mul_u32_u24_e32 v9, 0x157, v8
	v_add_co_u32 v2, vcc_lo, v0, v2
	v_add_co_ci_u32_e32 v3, vcc_lo, v1, v3, vcc_lo
	v_add_co_u32 v4, vcc_lo, v0, v4
	v_add_nc_u32_e32 v62, 0x80a, v62
	v_sub_nc_u32_e32 v9, v36, v9
	v_add_co_ci_u32_e32 v5, vcc_lo, v1, v5, vcc_lo
	v_lshlrev_b64 v[6:7], 3, v[6:7]
	global_store_dwordx2 v[2:3], v[97:98], off
	global_store_dwordx2 v[4:5], v[58:59], off
	v_lshlrev_b64 v[2:3], 3, v[62:63]
	v_mad_u32_u24 v62, 0x961, v8, v9
	v_mov_b32_e32 v9, v63
	v_add_co_u32 v4, vcc_lo, v0, v6
	v_add_co_ci_u32_e32 v5, vcc_lo, v1, v7, vcc_lo
	v_add_nc_u32_e32 v8, 0x157, v62
	v_lshlrev_b64 v[6:7], 3, v[62:63]
	v_add_co_u32 v2, vcc_lo, v0, v2
	v_add_co_ci_u32_e32 v3, vcc_lo, v1, v3, vcc_lo
	v_lshlrev_b64 v[8:9], 3, v[8:9]
	v_add_co_u32 v6, vcc_lo, v0, v6
	v_add_co_ci_u32_e32 v7, vcc_lo, v1, v7, vcc_lo
	v_add_nc_u32_e32 v10, 0x2ae, v62
	v_add_co_u32 v8, vcc_lo, v0, v8
	v_add_co_ci_u32_e32 v9, vcc_lo, v1, v9, vcc_lo
	global_store_dwordx2 v[4:5], v[56:57], off
	global_store_dwordx2 v[2:3], v[52:53], off
	global_store_dwordx2 v[6:7], v[48:49], off
	global_store_dwordx2 v[8:9], v[50:51], off
	v_lshlrev_b64 v[2:3], 3, v[10:11]
	v_add_nc_u32_e32 v10, 0x126, v128
	v_add_nc_u32_e32 v4, 0x405, v62
	v_mov_b32_e32 v5, v63
	v_add_nc_u32_e32 v6, 0x55c, v62
	v_mov_b32_e32 v7, v63
	v_mul_hi_u32 v11, 0xbf112a8b, v10
	v_add_nc_u32_e32 v8, 0x6b3, v62
	v_lshlrev_b64 v[4:5], 3, v[4:5]
	v_mov_b32_e32 v9, v63
	v_add_co_u32 v2, vcc_lo, v0, v2
	v_lshlrev_b64 v[6:7], 3, v[6:7]
	v_add_co_ci_u32_e32 v3, vcc_lo, v1, v3, vcc_lo
	v_lshrrev_b32_e32 v36, 8, v11
	v_add_co_u32 v4, vcc_lo, v0, v4
	v_lshlrev_b64 v[8:9], 3, v[8:9]
	v_add_nc_u32_e32 v62, 0x80a, v62
	v_mul_u32_u24_e32 v11, 0x157, v36
	v_add_co_ci_u32_e32 v5, vcc_lo, v1, v5, vcc_lo
	v_add_co_u32 v6, vcc_lo, v0, v6
	v_sub_nc_u32_e32 v37, v10, v11
	v_add_co_ci_u32_e32 v7, vcc_lo, v1, v7, vcc_lo
	v_lshlrev_b64 v[10:11], 3, v[62:63]
	v_add_co_u32 v8, vcc_lo, v0, v8
	v_mad_u32_u24 v62, 0x961, v36, v37
	v_add_co_ci_u32_e32 v9, vcc_lo, v1, v9, vcc_lo
	global_store_dwordx2 v[2:3], v[34:35], off
	global_store_dwordx2 v[4:5], v[32:33], off
	;; [unrolled: 1-line block ×4, first 2 shown]
	v_mov_b32_e32 v5, v63
	v_add_nc_u32_e32 v4, 0x157, v62
	v_lshlrev_b64 v[2:3], 3, v[62:63]
	v_add_co_u32 v6, vcc_lo, v0, v10
	v_add_co_ci_u32_e32 v7, vcc_lo, v1, v11, vcc_lo
	v_lshlrev_b64 v[4:5], 3, v[4:5]
	v_add_co_u32 v2, vcc_lo, v0, v2
	v_add_co_ci_u32_e32 v3, vcc_lo, v1, v3, vcc_lo
	v_add_nc_u32_e32 v8, 0x2ae, v62
	v_mov_b32_e32 v9, v63
	v_add_co_u32 v4, vcc_lo, v0, v4
	v_add_co_ci_u32_e32 v5, vcc_lo, v1, v5, vcc_lo
	v_add_nc_u32_e32 v10, 0x405, v62
	v_mov_b32_e32 v11, v63
	global_store_dwordx2 v[6:7], v[26:27], off
	global_store_dwordx2 v[2:3], v[12:13], off
	v_lshlrev_b64 v[2:3], 3, v[8:9]
	v_add_nc_u32_e32 v6, 0x55c, v62
	v_mov_b32_e32 v7, v63
	global_store_dwordx2 v[4:5], v[24:25], off
	v_lshlrev_b64 v[4:5], 3, v[10:11]
	v_add_nc_u32_e32 v8, 0x6b3, v62
	v_add_co_u32 v2, vcc_lo, v0, v2
	v_lshlrev_b64 v[6:7], 3, v[6:7]
	v_add_nc_u32_e32 v62, 0x80a, v62
	v_add_co_ci_u32_e32 v3, vcc_lo, v1, v3, vcc_lo
	v_add_co_u32 v4, vcc_lo, v0, v4
	v_lshlrev_b64 v[8:9], 3, v[8:9]
	v_add_co_ci_u32_e32 v5, vcc_lo, v1, v5, vcc_lo
	v_add_co_u32 v6, vcc_lo, v0, v6
	v_lshlrev_b64 v[10:11], 3, v[62:63]
	v_add_co_ci_u32_e32 v7, vcc_lo, v1, v7, vcc_lo
	v_add_co_u32 v8, vcc_lo, v0, v8
	v_add_co_ci_u32_e32 v9, vcc_lo, v1, v9, vcc_lo
	v_add_co_u32 v0, vcc_lo, v0, v10
	v_add_co_ci_u32_e32 v1, vcc_lo, v1, v11, vcc_lo
	global_store_dwordx2 v[2:3], v[22:23], off
	global_store_dwordx2 v[4:5], v[20:21], off
	;; [unrolled: 1-line block ×5, first 2 shown]
.LBB0_15:
	s_endpgm
	.section	.rodata,"a",@progbits
	.p2align	6, 0x0
	.amdhsa_kernel fft_rtc_back_len2401_factors_7_7_7_7_wgs_49_tpt_49_halfLds_sp_op_CI_CI_unitstride_sbrr_dirReg
		.amdhsa_group_segment_fixed_size 0
		.amdhsa_private_segment_fixed_size 0
		.amdhsa_kernarg_size 104
		.amdhsa_user_sgpr_count 6
		.amdhsa_user_sgpr_private_segment_buffer 1
		.amdhsa_user_sgpr_dispatch_ptr 0
		.amdhsa_user_sgpr_queue_ptr 0
		.amdhsa_user_sgpr_kernarg_segment_ptr 1
		.amdhsa_user_sgpr_dispatch_id 0
		.amdhsa_user_sgpr_flat_scratch_init 0
		.amdhsa_user_sgpr_private_segment_size 0
		.amdhsa_wavefront_size32 1
		.amdhsa_uses_dynamic_stack 0
		.amdhsa_system_sgpr_private_segment_wavefront_offset 0
		.amdhsa_system_sgpr_workgroup_id_x 1
		.amdhsa_system_sgpr_workgroup_id_y 0
		.amdhsa_system_sgpr_workgroup_id_z 0
		.amdhsa_system_sgpr_workgroup_info 0
		.amdhsa_system_vgpr_workitem_id 0
		.amdhsa_next_free_vgpr 206
		.amdhsa_next_free_sgpr 27
		.amdhsa_reserve_vcc 1
		.amdhsa_reserve_flat_scratch 0
		.amdhsa_float_round_mode_32 0
		.amdhsa_float_round_mode_16_64 0
		.amdhsa_float_denorm_mode_32 3
		.amdhsa_float_denorm_mode_16_64 3
		.amdhsa_dx10_clamp 1
		.amdhsa_ieee_mode 1
		.amdhsa_fp16_overflow 0
		.amdhsa_workgroup_processor_mode 1
		.amdhsa_memory_ordered 1
		.amdhsa_forward_progress 0
		.amdhsa_shared_vgpr_count 0
		.amdhsa_exception_fp_ieee_invalid_op 0
		.amdhsa_exception_fp_denorm_src 0
		.amdhsa_exception_fp_ieee_div_zero 0
		.amdhsa_exception_fp_ieee_overflow 0
		.amdhsa_exception_fp_ieee_underflow 0
		.amdhsa_exception_fp_ieee_inexact 0
		.amdhsa_exception_int_div_zero 0
	.end_amdhsa_kernel
	.text
.Lfunc_end0:
	.size	fft_rtc_back_len2401_factors_7_7_7_7_wgs_49_tpt_49_halfLds_sp_op_CI_CI_unitstride_sbrr_dirReg, .Lfunc_end0-fft_rtc_back_len2401_factors_7_7_7_7_wgs_49_tpt_49_halfLds_sp_op_CI_CI_unitstride_sbrr_dirReg
                                        ; -- End function
	.section	.AMDGPU.csdata,"",@progbits
; Kernel info:
; codeLenInByte = 25504
; NumSgprs: 29
; NumVgprs: 206
; ScratchSize: 0
; MemoryBound: 0
; FloatMode: 240
; IeeeMode: 1
; LDSByteSize: 0 bytes/workgroup (compile time only)
; SGPRBlocks: 3
; VGPRBlocks: 25
; NumSGPRsForWavesPerEU: 29
; NumVGPRsForWavesPerEU: 206
; Occupancy: 4
; WaveLimiterHint : 1
; COMPUTE_PGM_RSRC2:SCRATCH_EN: 0
; COMPUTE_PGM_RSRC2:USER_SGPR: 6
; COMPUTE_PGM_RSRC2:TRAP_HANDLER: 0
; COMPUTE_PGM_RSRC2:TGID_X_EN: 1
; COMPUTE_PGM_RSRC2:TGID_Y_EN: 0
; COMPUTE_PGM_RSRC2:TGID_Z_EN: 0
; COMPUTE_PGM_RSRC2:TIDIG_COMP_CNT: 0
	.text
	.p2alignl 6, 3214868480
	.fill 48, 4, 3214868480
	.type	__hip_cuid_b86b4d1db37dd8cc,@object ; @__hip_cuid_b86b4d1db37dd8cc
	.section	.bss,"aw",@nobits
	.globl	__hip_cuid_b86b4d1db37dd8cc
__hip_cuid_b86b4d1db37dd8cc:
	.byte	0                               ; 0x0
	.size	__hip_cuid_b86b4d1db37dd8cc, 1

	.ident	"AMD clang version 19.0.0git (https://github.com/RadeonOpenCompute/llvm-project roc-6.4.0 25133 c7fe45cf4b819c5991fe208aaa96edf142730f1d)"
	.section	".note.GNU-stack","",@progbits
	.addrsig
	.addrsig_sym __hip_cuid_b86b4d1db37dd8cc
	.amdgpu_metadata
---
amdhsa.kernels:
  - .args:
      - .actual_access:  read_only
        .address_space:  global
        .offset:         0
        .size:           8
        .value_kind:     global_buffer
      - .offset:         8
        .size:           8
        .value_kind:     by_value
      - .actual_access:  read_only
        .address_space:  global
        .offset:         16
        .size:           8
        .value_kind:     global_buffer
      - .actual_access:  read_only
        .address_space:  global
        .offset:         24
        .size:           8
        .value_kind:     global_buffer
      - .actual_access:  read_only
        .address_space:  global
        .offset:         32
        .size:           8
        .value_kind:     global_buffer
      - .offset:         40
        .size:           8
        .value_kind:     by_value
      - .actual_access:  read_only
        .address_space:  global
        .offset:         48
        .size:           8
        .value_kind:     global_buffer
      - .actual_access:  read_only
        .address_space:  global
        .offset:         56
        .size:           8
        .value_kind:     global_buffer
      - .offset:         64
        .size:           4
        .value_kind:     by_value
      - .actual_access:  read_only
        .address_space:  global
        .offset:         72
        .size:           8
        .value_kind:     global_buffer
      - .actual_access:  read_only
        .address_space:  global
        .offset:         80
        .size:           8
        .value_kind:     global_buffer
      - .actual_access:  read_only
        .address_space:  global
        .offset:         88
        .size:           8
        .value_kind:     global_buffer
      - .actual_access:  write_only
        .address_space:  global
        .offset:         96
        .size:           8
        .value_kind:     global_buffer
    .group_segment_fixed_size: 0
    .kernarg_segment_align: 8
    .kernarg_segment_size: 104
    .language:       OpenCL C
    .language_version:
      - 2
      - 0
    .max_flat_workgroup_size: 49
    .name:           fft_rtc_back_len2401_factors_7_7_7_7_wgs_49_tpt_49_halfLds_sp_op_CI_CI_unitstride_sbrr_dirReg
    .private_segment_fixed_size: 0
    .sgpr_count:     29
    .sgpr_spill_count: 0
    .symbol:         fft_rtc_back_len2401_factors_7_7_7_7_wgs_49_tpt_49_halfLds_sp_op_CI_CI_unitstride_sbrr_dirReg.kd
    .uniform_work_group_size: 1
    .uses_dynamic_stack: false
    .vgpr_count:     206
    .vgpr_spill_count: 0
    .wavefront_size: 32
    .workgroup_processor_mode: 1
amdhsa.target:   amdgcn-amd-amdhsa--gfx1030
amdhsa.version:
  - 1
  - 2
...

	.end_amdgpu_metadata
